;; amdgpu-corpus repo=ROCm/rocFFT kind=compiled arch=gfx1030 opt=O3
	.text
	.amdgcn_target "amdgcn-amd-amdhsa--gfx1030"
	.amdhsa_code_object_version 6
	.protected	bluestein_single_back_len585_dim1_half_op_CI_CI ; -- Begin function bluestein_single_back_len585_dim1_half_op_CI_CI
	.globl	bluestein_single_back_len585_dim1_half_op_CI_CI
	.p2align	8
	.type	bluestein_single_back_len585_dim1_half_op_CI_CI,@function
bluestein_single_back_len585_dim1_half_op_CI_CI: ; @bluestein_single_back_len585_dim1_half_op_CI_CI
; %bb.0:
	s_load_dwordx4 s[0:3], s[4:5], 0x28
	v_mul_u32_u24_e32 v1, 0x3f1, v0
	v_lshrrev_b32_e32 v1, 16, v1
	v_mad_u64_u32 v[16:17], null, s6, 3, v[1:2]
	v_mov_b32_e32 v17, 0
	s_waitcnt lgkmcnt(0)
	v_cmp_gt_u64_e32 vcc_lo, s[0:1], v[16:17]
	s_and_saveexec_b32 s0, vcc_lo
	s_cbranch_execz .LBB0_23
; %bb.1:
	v_mul_hi_u32 v2, 0xaaaaaaab, v16
	s_clause 0x1
	s_load_dwordx2 s[20:21], s[4:5], 0x0
	s_load_dwordx2 s[8:9], s[4:5], 0x38
	v_mul_lo_u16 v1, 0x41, v1
	v_sub_nc_u16 v0, v0, v1
	v_lshrrev_b32_e32 v2, 1, v2
	v_and_b32_e32 v34, 0xffff, v0
	v_lshl_add_u32 v2, v2, 1, v2
	v_cmp_gt_u16_e32 vcc_lo, 45, v0
	v_lshlrev_b32_e32 v33, 2, v34
	v_sub_nc_u32_e32 v1, v16, v2
	v_mul_u32_u24_e32 v21, 0x249, v1
	v_lshlrev_b32_e32 v35, 2, v21
	s_and_saveexec_b32 s1, vcc_lo
	s_cbranch_execz .LBB0_3
; %bb.2:
	s_load_dwordx2 s[6:7], s[4:5], 0x18
	s_waitcnt lgkmcnt(0)
	s_load_dwordx4 s[12:15], s[6:7], 0x0
	s_waitcnt lgkmcnt(0)
	v_mad_u64_u32 v[0:1], null, s14, v16, 0
	v_mad_u64_u32 v[2:3], null, s12, v34, 0
	s_mul_i32 s6, s13, 0xb4
	s_mul_hi_u32 s7, s12, 0xb4
	s_add_i32 s7, s7, s6
	v_mad_u64_u32 v[4:5], null, s15, v16, v[1:2]
	v_mad_u64_u32 v[5:6], null, s13, v34, v[3:4]
	v_mov_b32_e32 v1, v4
	v_lshlrev_b64 v[0:1], 2, v[0:1]
	v_mov_b32_e32 v3, v5
	v_add_co_u32 v0, s0, s2, v0
	v_lshlrev_b64 v[2:3], 2, v[2:3]
	v_add_co_ci_u32_e64 v1, s0, s3, v1, s0
	s_mul_i32 s2, s12, 0xb4
	v_add_co_u32 v0, s0, v0, v2
	v_add_co_ci_u32_e64 v1, s0, v1, v3, s0
	v_add_co_u32 v2, s0, v0, s2
	v_add_co_ci_u32_e64 v3, s0, s7, v1, s0
	global_load_dword v6, v[0:1], off
	v_add_co_u32 v0, s0, v2, s2
	v_add_co_ci_u32_e64 v1, s0, s7, v3, s0
	v_add_co_u32 v7, s0, s20, v33
	v_add_co_ci_u32_e64 v8, null, s21, 0, s0
	global_load_dword v9, v33, s[20:21]
	s_clause 0x1
	global_load_dword v10, v[2:3], off
	global_load_dword v11, v[0:1], off
	v_add_co_u32 v0, s0, v0, s2
	v_add_co_ci_u32_e64 v1, s0, s7, v1, s0
	s_clause 0x5
	global_load_dword v12, v33, s[20:21] offset:180
	global_load_dword v13, v33, s[20:21] offset:360
	;; [unrolled: 1-line block ×6, first 2 shown]
	v_add_co_u32 v2, s0, v0, s2
	v_add_co_ci_u32_e64 v3, s0, s7, v1, s0
	s_clause 0x1
	global_load_dword v19, v[0:1], off
	global_load_dword v20, v[2:3], off
	v_add_co_u32 v0, s0, v2, s2
	v_add_co_ci_u32_e64 v1, s0, s7, v3, s0
	v_add_co_u32 v2, s0, v0, s2
	v_add_co_ci_u32_e64 v3, s0, s7, v1, s0
	global_load_dword v22, v[0:1], off
	v_add_co_u32 v0, s0, v2, s2
	v_add_co_ci_u32_e64 v1, s0, s7, v3, s0
	global_load_dword v23, v[2:3], off
	v_add_co_u32 v2, s0, v0, s2
	v_add_co_ci_u32_e64 v3, s0, s7, v1, s0
	global_load_dword v24, v[0:1], off
	v_add_co_u32 v0, s0, v2, s2
	v_add_co_ci_u32_e64 v1, s0, s7, v3, s0
	s_clause 0x1
	global_load_dword v25, v33, s[20:21] offset:1260
	global_load_dword v26, v33, s[20:21] offset:1440
	v_add_co_u32 v4, s0, v0, s2
	v_add_co_ci_u32_e64 v5, s0, s7, v1, s0
	global_load_dword v27, v[2:3], off
	v_add_co_u32 v2, s0, v4, s2
	v_add_co_ci_u32_e64 v3, s0, s7, v5, s0
	global_load_dword v28, v[0:1], off
	s_clause 0x1
	global_load_dword v29, v33, s[20:21] offset:1620
	global_load_dword v30, v33, s[20:21] offset:1800
	global_load_dword v4, v[4:5], off
	global_load_dword v5, v[2:3], off
	v_add_co_u32 v0, s0, v2, s2
	v_add_co_ci_u32_e64 v1, s0, s7, v3, s0
	v_add_co_u32 v2, s0, 0x800, v7
	v_add_co_ci_u32_e64 v3, s0, 0, v8, s0
	global_load_dword v0, v[0:1], off
	s_clause 0x1
	global_load_dword v1, v33, s[20:21] offset:1980
	global_load_dword v2, v[2:3], off offset:112
	v_lshl_add_u32 v8, v34, 2, v35
	v_add_nc_u32_e32 v3, v35, v33
	v_add_nc_u32_e32 v32, 0x200, v3
	;; [unrolled: 1-line block ×3, first 2 shown]
	s_waitcnt vmcnt(25)
	v_lshrrev_b32_e32 v7, 16, v6
	s_waitcnt vmcnt(24)
	v_mul_f16_sdwa v31, v9, v6 dst_sel:DWORD dst_unused:UNUSED_PAD src0_sel:WORD_1 src1_sel:DWORD
	v_mul_f16_sdwa v36, v9, v7 dst_sel:DWORD dst_unused:UNUSED_PAD src0_sel:WORD_1 src1_sel:DWORD
	s_waitcnt vmcnt(23)
	v_lshrrev_b32_e32 v37, 16, v10
	s_waitcnt vmcnt(20)
	v_mul_f16_sdwa v39, v13, v11 dst_sel:DWORD dst_unused:UNUSED_PAD src0_sel:WORD_1 src1_sel:DWORD
	v_fma_f16 v7, v9, v7, -v31
	v_mul_f16_sdwa v31, v12, v10 dst_sel:DWORD dst_unused:UNUSED_PAD src0_sel:WORD_1 src1_sel:DWORD
	v_fmac_f16_e32 v36, v9, v6
	v_mul_f16_sdwa v6, v12, v37 dst_sel:DWORD dst_unused:UNUSED_PAD src0_sel:WORD_1 src1_sel:DWORD
	v_lshrrev_b32_e32 v9, 16, v11
	v_fma_f16 v31, v12, v37, -v31
	v_pack_b32_f16 v7, v36, v7
	v_fmac_f16_e32 v6, v12, v10
	v_mul_f16_sdwa v10, v13, v9 dst_sel:DWORD dst_unused:UNUSED_PAD src0_sel:WORD_1 src1_sel:DWORD
	s_waitcnt vmcnt(15)
	v_lshrrev_b32_e32 v12, 16, v19
	v_fma_f16 v9, v13, v9, -v39
	v_mul_f16_sdwa v36, v14, v19 dst_sel:DWORD dst_unused:UNUSED_PAD src0_sel:WORD_1 src1_sel:DWORD
	ds_write_b32 v8, v7
	v_fmac_f16_e32 v10, v13, v11
	v_mul_f16_sdwa v7, v14, v12 dst_sel:DWORD dst_unused:UNUSED_PAD src0_sel:WORD_1 src1_sel:DWORD
	s_waitcnt vmcnt(14)
	v_lshrrev_b32_e32 v8, 16, v20
	v_mul_f16_sdwa v11, v15, v20 dst_sel:DWORD dst_unused:UNUSED_PAD src0_sel:WORD_1 src1_sel:DWORD
	v_pack_b32_f16 v6, v6, v31
	v_fma_f16 v12, v14, v12, -v36
	v_pack_b32_f16 v9, v10, v9
	v_fmac_f16_e32 v7, v14, v19
	v_mul_f16_sdwa v10, v15, v8 dst_sel:DWORD dst_unused:UNUSED_PAD src0_sel:WORD_1 src1_sel:DWORD
	v_fma_f16 v8, v15, v8, -v11
	s_waitcnt vmcnt(13)
	v_lshrrev_b32_e32 v11, 16, v22
	v_mul_f16_sdwa v13, v17, v22 dst_sel:DWORD dst_unused:UNUSED_PAD src0_sel:WORD_1 src1_sel:DWORD
	ds_write2_b32 v3, v6, v9 offset0:45 offset1:90
	v_pack_b32_f16 v6, v7, v12
	v_fmac_f16_e32 v10, v15, v20
	v_mul_f16_sdwa v7, v17, v11 dst_sel:DWORD dst_unused:UNUSED_PAD src0_sel:WORD_1 src1_sel:DWORD
	s_waitcnt vmcnt(12)
	v_lshrrev_b32_e32 v9, 16, v23
	v_fma_f16 v11, v17, v11, -v13
	v_mul_f16_sdwa v12, v18, v23 dst_sel:DWORD dst_unused:UNUSED_PAD src0_sel:WORD_1 src1_sel:DWORD
	v_pack_b32_f16 v8, v10, v8
	v_fmac_f16_e32 v7, v17, v22
	v_mul_f16_sdwa v10, v18, v9 dst_sel:DWORD dst_unused:UNUSED_PAD src0_sel:WORD_1 src1_sel:DWORD
	s_waitcnt vmcnt(11)
	v_lshrrev_b32_e32 v13, 16, v24
	s_waitcnt vmcnt(10)
	v_mul_f16_sdwa v14, v25, v24 dst_sel:DWORD dst_unused:UNUSED_PAD src0_sel:WORD_1 src1_sel:DWORD
	v_fma_f16 v9, v18, v9, -v12
	v_pack_b32_f16 v7, v7, v11
	v_fmac_f16_e32 v10, v18, v23
	v_mul_f16_sdwa v11, v25, v13 dst_sel:DWORD dst_unused:UNUSED_PAD src0_sel:WORD_1 src1_sel:DWORD
	v_fma_f16 v12, v25, v13, -v14
	s_waitcnt vmcnt(8)
	v_lshrrev_b32_e32 v13, 16, v27
	v_mul_f16_sdwa v14, v26, v27 dst_sel:DWORD dst_unused:UNUSED_PAD src0_sel:WORD_1 src1_sel:DWORD
	v_pack_b32_f16 v9, v10, v9
	v_fmac_f16_e32 v11, v25, v24
	s_waitcnt vmcnt(7)
	v_lshrrev_b32_e32 v10, 16, v28
	v_mul_f16_sdwa v15, v26, v13 dst_sel:DWORD dst_unused:UNUSED_PAD src0_sel:WORD_1 src1_sel:DWORD
	v_fma_f16 v13, v26, v13, -v14
	s_waitcnt vmcnt(6)
	v_mul_f16_sdwa v14, v29, v28 dst_sel:DWORD dst_unused:UNUSED_PAD src0_sel:WORD_1 src1_sel:DWORD
	s_waitcnt vmcnt(4)
	v_lshrrev_b32_e32 v17, 16, v4
	v_pack_b32_f16 v11, v11, v12
	v_mul_f16_sdwa v12, v29, v10 dst_sel:DWORD dst_unused:UNUSED_PAD src0_sel:WORD_1 src1_sel:DWORD
	s_waitcnt vmcnt(3)
	v_lshrrev_b32_e32 v18, 16, v5
	v_fma_f16 v10, v29, v10, -v14
	v_mul_f16_sdwa v14, v30, v4 dst_sel:DWORD dst_unused:UNUSED_PAD src0_sel:WORD_1 src1_sel:DWORD
	s_waitcnt vmcnt(2)
	v_lshrrev_b32_e32 v20, 16, v0
	v_mul_f16_sdwa v19, v30, v17 dst_sel:DWORD dst_unused:UNUSED_PAD src0_sel:WORD_1 src1_sel:DWORD
	s_waitcnt vmcnt(1)
	v_mul_f16_sdwa v22, v1, v18 dst_sel:DWORD dst_unused:UNUSED_PAD src0_sel:WORD_1 src1_sel:DWORD
	s_waitcnt vmcnt(0)
	v_mul_f16_sdwa v23, v2, v0 dst_sel:DWORD dst_unused:UNUSED_PAD src0_sel:WORD_1 src1_sel:DWORD
	v_fma_f16 v14, v30, v17, -v14
	v_mul_f16_sdwa v17, v1, v5 dst_sel:DWORD dst_unused:UNUSED_PAD src0_sel:WORD_1 src1_sel:DWORD
	v_mul_f16_sdwa v24, v2, v20 dst_sel:DWORD dst_unused:UNUSED_PAD src0_sel:WORD_1 src1_sel:DWORD
	v_fmac_f16_e32 v15, v26, v27
	v_fmac_f16_e32 v12, v29, v28
	;; [unrolled: 1-line block ×3, first 2 shown]
	v_fma_f16 v4, v1, v18, -v17
	v_fmac_f16_e32 v22, v1, v5
	v_fma_f16 v1, v2, v20, -v23
	v_fmac_f16_e32 v24, v2, v0
	v_pack_b32_f16 v0, v15, v13
	v_pack_b32_f16 v2, v12, v10
	;; [unrolled: 1-line block ×5, first 2 shown]
	v_add_nc_u32_e32 v10, 0x600, v3
	ds_write2_b32 v3, v6, v8 offset0:135 offset1:180
	ds_write2_b32 v32, v7, v9 offset0:97 offset1:142
	ds_write2_b32 v38, v11, v0 offset0:59 offset1:104
	ds_write2_b32 v38, v2, v5 offset0:149 offset1:194
	ds_write2_b32 v10, v4, v1 offset0:111 offset1:156
.LBB0_3:
	s_or_b32 exec_lo, exec_lo, s1
	v_mov_b32_e32 v6, 0
	s_waitcnt lgkmcnt(0)
	s_barrier
	buffer_gl0_inv
                                        ; implicit-def: $vgpr5
                                        ; implicit-def: $vgpr2
                                        ; implicit-def: $vgpr9
                                        ; implicit-def: $vgpr0
                                        ; implicit-def: $vgpr11
                                        ; implicit-def: $vgpr15
	s_and_saveexec_b32 s0, vcc_lo
	s_cbranch_execz .LBB0_5
; %bb.4:
	v_lshl_add_u32 v12, v21, 2, v33
	v_add_nc_u32_e32 v0, 0x400, v12
	ds_read2_b32 v[6:7], v12 offset1:45
	ds_read2_b32 v[10:11], v12 offset0:90 offset1:135
	ds_read2_b32 v[8:9], v12 offset0:180 offset1:225
	;; [unrolled: 1-line block ×5, first 2 shown]
	ds_read_b32 v15, v12 offset:2160
.LBB0_5:
	s_or_b32 exec_lo, exec_lo, s0
	s_waitcnt lgkmcnt(0)
	v_pk_add_f16 v28, v7, v15 neg_lo:[0,1] neg_hi:[0,1]
	v_mov_b32_e32 v12, 0xb770
	v_mov_b32_e32 v20, 0xba95
	v_pk_add_f16 v32, v15, v7
	v_mov_b32_e32 v14, 0xb94e
	v_pk_add_f16 v41, v10, v1 neg_lo:[0,1] neg_hi:[0,1]
	v_mul_f16_sdwa v19, v28, v12 dst_sel:DWORD dst_unused:UNUSED_PAD src0_sel:WORD_1 src1_sel:DWORD
	v_mov_b32_e32 v42, 0xbbf1
	v_pk_add_f16 v38, v1, v10
	v_mul_f16_sdwa v17, v28, v14 dst_sel:DWORD dst_unused:UNUSED_PAD src0_sel:WORD_1 src1_sel:DWORD
	v_mul_f16_sdwa v22, v41, v20 dst_sel:DWORD dst_unused:UNUSED_PAD src0_sel:WORD_1 src1_sel:DWORD
	v_fmamk_f16 v12, v32, 0x3b15, v19
	v_mov_b32_e32 v18, 0x3bf1
	v_pk_add_f16 v46, v11, v0 neg_lo:[0,1] neg_hi:[0,1]
	v_mul_f16_sdwa v24, v28, v20 dst_sel:DWORD dst_unused:UNUSED_PAD src0_sel:WORD_1 src1_sel:DWORD
	v_mov_b32_e32 v40, 0xbb7b
	v_fma_f16 v43, v32, 0xb9fd, -v17
	v_fmac_f16_e32 v17, 0xb9fd, v32
	v_fmamk_f16 v36, v38, 0x388b, v22
	v_mul_f16_sdwa v47, v41, v18 dst_sel:DWORD dst_unused:UNUSED_PAD src0_sel:WORD_1 src1_sel:DWORD
	v_pk_add_f16 v37, v0, v11
	v_mul_f16_sdwa v25, v46, v42 dst_sel:DWORD dst_unused:UNUSED_PAD src0_sel:WORD_1 src1_sel:DWORD
	v_add_f16_e32 v12, v12, v6
	v_fmamk_f16 v13, v32, 0x388b, v24
	v_mul_f16_sdwa v23, v41, v40 dst_sel:DWORD dst_unused:UNUSED_PAD src0_sel:WORD_1 src1_sel:DWORD
	v_mov_b32_e32 v48, 0xb3a8
	v_fma_f16 v53, v38, 0x2fb7, -v47
	v_fmac_f16_e32 v47, 0x2fb7, v38
	v_mul_f16_sdwa v50, v46, v20 dst_sel:DWORD dst_unused:UNUSED_PAD src0_sel:WORD_1 src1_sel:DWORD
	v_fmamk_f16 v51, v37, 0x2fb7, v25
	v_pk_add_f16 v61, v8, v3 neg_lo:[0,1] neg_hi:[0,1]
	v_add_f16_e32 v17, v17, v6
	v_add_f16_e32 v12, v36, v12
	v_pk_mul_f16 v62, 0xb3a8, v28 op_sel_hi:[0,1]
	v_fmamk_f16 v45, v38, 0xb5ac, v23
	v_mov_b32_e32 v49, 0x394e
	v_mul_f16_sdwa v26, v46, v48 dst_sel:DWORD dst_unused:UNUSED_PAD src0_sel:WORD_1 src1_sel:DWORD
	v_fma_f16 v68, v37, 0x388b, -v50
	v_pk_add_f16 v39, v3, v8
	v_mul_f16_sdwa v27, v61, v40 dst_sel:DWORD dst_unused:UNUSED_PAD src0_sel:WORD_1 src1_sel:DWORD
	v_fmac_f16_e32 v50, 0x388b, v37
	v_pk_add_f16 v85, v9, v2 neg_lo:[0,1] neg_hi:[0,1]
	v_add_f16_e32 v13, v13, v6
	v_add_f16_e32 v17, v47, v17
	;; [unrolled: 1-line block ×3, first 2 shown]
	v_pk_fma_f16 v51, 0xbbc4, v32, v62 op_sel:[0,0,1] op_sel_hi:[0,1,0]
	v_pk_mul_f16 v63, 0x3770, v41 op_sel_hi:[0,1]
	v_fmamk_f16 v54, v37, 0xbbc4, v26
	v_mov_b32_e32 v75, 0x33a8
	v_mul_f16_sdwa v30, v61, v49 dst_sel:DWORD dst_unused:UNUSED_PAD src0_sel:WORD_1 src1_sel:DWORD
	v_fmamk_f16 v56, v39, 0xb5ac, v27
	v_pk_add_f16 v44, v2, v9
	v_mul_f16_sdwa v29, v85, v14 dst_sel:DWORD dst_unused:UNUSED_PAD src0_sel:WORD_1 src1_sel:DWORD
	v_pk_add_f16 v87, v4, v5 neg_lo:[0,1] neg_hi:[0,1]
	v_add_f16_e32 v13, v45, v13
	v_add_f16_e32 v17, v50, v17
	v_pk_add_f16 v50, v51, v6
	v_pk_fma_f16 v51, 0x3b15, v38, v63 op_sel:[0,0,1] op_sel_hi:[0,1,0]
	v_pk_mul_f16 v69, 0xb94e, v46 op_sel_hi:[0,1]
	v_mov_b32_e32 v66, 0x3770
	v_mul_f16_sdwa v55, v61, v75 dst_sel:DWORD dst_unused:UNUSED_PAD src0_sel:WORD_1 src1_sel:DWORD
	v_fmamk_f16 v57, v39, 0xb9fd, v30
	v_mul_f16_sdwa v31, v85, v18 dst_sel:DWORD dst_unused:UNUSED_PAD src0_sel:WORD_1 src1_sel:DWORD
	v_fmamk_f16 v18, v44, 0xb9fd, v29
	v_pk_add_f16 v52, v5, v4
	v_mul_f16_sdwa v36, v87, v48 dst_sel:DWORD dst_unused:UNUSED_PAD src0_sel:WORD_1 src1_sel:DWORD
	v_add_f16_e32 v13, v54, v13
	v_add_f16_e32 v12, v56, v12
	v_pk_add_f16 v50, v51, v50
	v_pk_fma_f16 v51, 0xb9fd, v37, v69 op_sel:[0,0,1] op_sel_hi:[0,1,0]
	v_pk_mul_f16 v80, 0x3a95, v61 op_sel_hi:[0,1]
	v_fma_f16 v79, v39, 0xbbc4, -v55
	v_fmac_f16_e32 v55, 0xbbc4, v39
	v_fmamk_f16 v58, v44, 0x2fb7, v31
	v_mul_f16_sdwa v45, v85, v66 dst_sel:DWORD dst_unused:UNUSED_PAD src0_sel:WORD_1 src1_sel:DWORD
	v_mul_f16_sdwa v47, v87, v66 dst_sel:DWORD dst_unused:UNUSED_PAD src0_sel:WORD_1 src1_sel:DWORD
	v_fmamk_f16 v54, v52, 0xbbc4, v36
	v_add_f16_e32 v13, v57, v13
	v_add_f16_e32 v12, v18, v12
	v_pk_add_f16 v50, v51, v50
	v_pk_fma_f16 v51, 0x388b, v39, v80 op_sel:[0,0,1] op_sel_hi:[0,1,0]
	v_pk_mul_f16 v92, 0xbb7b, v85 op_sel_hi:[0,1]
	v_fma_f16 v89, v44, 0x3b15, -v45
	v_add_f16_e32 v55, v55, v17
	v_fmamk_f16 v17, v52, 0x3b15, v47
	v_add_f16_e32 v13, v58, v13
	v_fmac_f16_e32 v45, 0x3b15, v44
	v_add_f16_e32 v18, v54, v12
	v_pk_add_f16 v12, v51, v50
	v_pk_fma_f16 v51, 0xb5ac, v44, v92 op_sel:[0,0,1] op_sel_hi:[0,1,0]
	v_lshrrev_b32_e32 v70, 16, v32
	v_mul_f16_e32 v50, 0xb770, v28
	v_add_f16_e32 v17, v17, v13
	v_add_f16_e32 v13, v45, v55
	v_pk_add_f16 v12, v51, v12
	v_mul_f16_sdwa v45, v87, v40 dst_sel:DWORD dst_unused:UNUSED_PAD src0_sel:WORD_1 src1_sel:DWORD
	v_pk_mul_f16 v93, 0x3bf1, v87 op_sel_hi:[0,1]
	v_fma_f16 v54, v70, 0x3b15, -v50
	v_lshrrev_b32_e32 v71, 16, v38
	v_mul_f16_e32 v51, 0xba95, v41
	v_fma_f16 v94, v52, 0xb5ac, -v45
	v_fmac_f16_e32 v45, 0xb5ac, v52
	v_pk_fma_f16 v55, 0x2fb7, v52, v93 op_sel:[0,0,1] op_sel_hi:[0,1,0]
	v_add_f16_sdwa v56, v54, v6 dst_sel:DWORD dst_unused:UNUSED_PAD src0_sel:DWORD src1_sel:WORD_1
	v_fma_f16 v58, v71, 0x388b, -v51
	v_mul_f16_e32 v54, 0xba95, v28
	v_mul_f16_sdwa v57, v28, v42 dst_sel:DWORD dst_unused:UNUSED_PAD src0_sel:WORD_1 src1_sel:DWORD
	v_add_f16_e32 v13, v45, v13
	v_pk_add_f16 v12, v55, v12
	v_add_f16_e32 v45, v58, v56
	v_fma_f16 v56, v70, 0x388b, -v54
	v_mul_f16_e32 v55, 0xbb7b, v41
	v_fmamk_f16 v59, v32, 0x2fb7, v57
	v_mul_f16_sdwa v58, v41, v48 dst_sel:DWORD dst_unused:UNUSED_PAD src0_sel:WORD_1 src1_sel:DWORD
	v_mul_f16_sdwa v64, v28, v40 dst_sel:DWORD dst_unused:UNUSED_PAD src0_sel:WORD_1 src1_sel:DWORD
	v_add_f16_sdwa v48, v56, v6 dst_sel:DWORD dst_unused:UNUSED_PAD src0_sel:DWORD src1_sel:WORD_1
	v_fma_f16 v56, v71, 0xb5ac, -v55
	v_add_f16_e32 v65, v59, v6
	v_fmamk_f16 v67, v38, 0xbbc4, v58
	v_mul_f16_e32 v60, 0xbbf1, v28
	v_mul_f16_e32 v73, 0xbb7b, v28
	v_add_f16_e32 v40, v56, v48
	v_mul_f16_e32 v28, 0xb94e, v28
	v_add_f16_e32 v48, v67, v65
	v_fmamk_f16 v65, v32, 0xb5ac, v64
	v_fma_f16 v72, v70, 0x2fb7, -v60
	v_mul_f16_e32 v59, 0xb3a8, v41
	v_mul_f16_sdwa v67, v41, v49 dst_sel:DWORD dst_unused:UNUSED_PAD src0_sel:WORD_1 src1_sel:DWORD
	v_mul_f16_e32 v76, 0x394e, v41
	v_add_f16_e32 v49, v65, v6
	v_fma_f16 v65, v70, 0xb5ac, -v73
	v_fmamk_f16 v77, v70, 0xb9fd, v28
	v_mul_f16_e32 v41, 0x3bf1, v41
	v_add_f16_sdwa v56, v72, v6 dst_sel:DWORD dst_unused:UNUSED_PAD src0_sel:DWORD src1_sel:WORD_1
	v_fma_f16 v72, v71, 0xbbc4, -v59
	v_fmamk_f16 v74, v38, 0xb9fd, v67
	v_add_f16_sdwa v65, v65, v6 dst_sel:DWORD dst_unused:UNUSED_PAD src0_sel:DWORD src1_sel:WORD_1
	v_fma_f16 v78, v71, 0xb9fd, -v76
	v_add_f16_e32 v43, v43, v6
	v_add_f16_sdwa v77, v77, v6 dst_sel:DWORD dst_unused:UNUSED_PAD src0_sel:DWORD src1_sel:WORD_1
	v_fmamk_f16 v81, v71, 0x2fb7, v41
	v_fma_f16 v28, v70, 0xb9fd, -v28
	v_pk_fma_f16 v62, 0xbbc4, v32, v62 op_sel:[0,0,1] op_sel_hi:[0,1,0] neg_lo:[0,0,1] neg_hi:[0,0,1]
	v_add_f16_e32 v56, v72, v56
	v_add_f16_e32 v49, v74, v49
	;; [unrolled: 1-line block ×5, first 2 shown]
	v_lshrrev_b32_e32 v78, 16, v37
	v_mul_f16_e32 v53, 0xbbf1, v46
	v_fma_f16 v41, v71, 0x2fb7, -v41
	v_add_f16_sdwa v28, v28, v6 dst_sel:DWORD dst_unused:UNUSED_PAD src0_sel:DWORD src1_sel:WORD_1
	v_pk_add_f16 v65, v62, v6
	v_pk_fma_f16 v63, 0x3b15, v38, v63 op_sel:[0,0,1] op_sel_hi:[0,1,0] neg_lo:[0,0,1] neg_hi:[0,0,1]
	v_mov_b32_e32 v81, 0x3b7b
	v_fma_f16 v77, v78, 0x2fb7, -v53
	v_add_f16_e32 v28, v41, v28
	v_mul_f16_e32 v62, 0xb3a8, v46
	v_pk_add_f16 v41, v63, v65
	v_mul_f16_sdwa v63, v46, v81 dst_sel:DWORD dst_unused:UNUSED_PAD src0_sel:WORD_1 src1_sel:DWORD
	v_mul_f16_e32 v81, 0x3770, v46
	v_add_f16_e32 v45, v77, v45
	v_mul_f16_e32 v65, 0x3b7b, v46
	v_fma_f16 v82, v78, 0xbbc4, -v62
	v_mul_f16_sdwa v77, v46, v66 dst_sel:DWORD dst_unused:UNUSED_PAD src0_sel:WORD_1 src1_sel:DWORD
	v_fma_f16 v86, v78, 0x3b15, -v81
	v_mul_f16_e32 v46, 0xba95, v46
	v_fma_f16 v84, v78, 0xb5ac, -v65
	v_add_f16_e32 v40, v82, v40
	v_fmamk_f16 v82, v37, 0x3b15, v77
	v_add_f16_e32 v86, v86, v72
	v_fmamk_f16 v72, v78, 0x388b, v46
	v_pk_fma_f16 v69, 0xb9fd, v37, v69 op_sel:[0,0,1] op_sel_hi:[0,1,0] neg_lo:[0,0,1] neg_hi:[0,0,1]
	v_fmamk_f16 v83, v37, 0xb5ac, v63
	v_add_f16_e32 v88, v84, v56
	v_add_f16_e32 v49, v82, v49
	v_lshrrev_b32_e32 v82, 16, v39
	v_mul_f16_e32 v56, 0xbb7b, v61
	v_fma_f16 v46, v78, 0x388b, -v46
	v_add_f16_e32 v90, v72, v74
	v_pk_add_f16 v41, v69, v41
	v_mul_f16_e32 v69, 0x394e, v61
	v_mul_f16_sdwa v72, v61, v66 dst_sel:DWORD dst_unused:UNUSED_PAD src0_sel:WORD_1 src1_sel:DWORD
	v_mul_f16_e32 v74, 0x3770, v61
	v_add_f16_e32 v48, v83, v48
	v_add_f16_e32 v43, v68, v43
	v_fma_f16 v68, v82, 0xb5ac, -v56
	v_add_f16_e32 v28, v46, v28
	v_mul_f16_sdwa v83, v61, v42 dst_sel:DWORD dst_unused:UNUSED_PAD src0_sel:WORD_1 src1_sel:DWORD
	v_fma_f16 v42, v82, 0xb9fd, -v69
	v_mul_f16_e32 v84, 0xbbf1, v61
	v_fmamk_f16 v46, v39, 0x3b15, v72
	v_fma_f16 v66, v82, 0x3b15, -v74
	v_add_f16_e32 v45, v68, v45
	v_fmamk_f16 v68, v39, 0x2fb7, v83
	v_add_f16_e32 v40, v42, v40
	v_fma_f16 v42, v82, 0x2fb7, -v84
	v_add_f16_e32 v46, v46, v48
	v_add_f16_e32 v48, v66, v88
	v_mul_f16_e32 v66, 0x33a8, v61
	v_add_f16_e32 v49, v68, v49
	v_add_f16_e32 v42, v42, v86
	;; [unrolled: 1-line block ×3, first 2 shown]
	v_lshrrev_b32_e32 v86, 16, v44
	v_mul_f16_e32 v61, 0xb94e, v85
	v_fmamk_f16 v79, v82, 0xbbc4, v66
	v_fma_f16 v66, v82, 0xbbc4, -v66
	v_mul_f16_e32 v68, 0x3bf1, v85
	v_pk_fma_f16 v80, 0x388b, v39, v80 op_sel:[0,0,1] op_sel_hi:[0,1,0] neg_lo:[0,0,1] neg_hi:[0,0,1]
	v_fma_f16 v88, v86, 0xb9fd, -v61
	v_add_f16_e32 v91, v79, v90
	v_add_f16_e32 v28, v66, v28
	v_fma_f16 v66, v86, 0x2fb7, -v68
	v_pk_add_f16 v41, v80, v41
	v_mul_f16_sdwa v79, v85, v20 dst_sel:DWORD dst_unused:UNUSED_PAD src0_sel:WORD_1 src1_sel:DWORD
	v_mul_f16_e32 v80, 0xba95, v85
	v_mul_f16_e32 v90, 0x33a8, v85
	v_add_f16_e32 v45, v88, v45
	v_add_f16_e32 v20, v66, v40
	v_mul_f16_sdwa v88, v85, v75 dst_sel:DWORD dst_unused:UNUSED_PAD src0_sel:WORD_1 src1_sel:DWORD
	v_fmamk_f16 v40, v44, 0x388b, v79
	v_fma_f16 v66, v86, 0x388b, -v80
	v_mul_f16_e32 v75, 0x3770, v85
	v_fma_f16 v95, v86, 0xbbc4, -v90
	v_fmamk_f16 v85, v44, 0xbbc4, v88
	v_add_f16_e32 v40, v40, v46
	v_add_f16_e32 v46, v66, v48
	v_fmamk_f16 v48, v86, 0x3b15, v75
	v_add_f16_e32 v95, v95, v42
	v_fma_f16 v42, v86, 0x3b15, -v75
	v_mul_f16_e32 v75, 0x3770, v87
	v_add_f16_e32 v49, v85, v49
	v_add_f16_e32 v48, v48, v91
	v_lshrrev_b32_e32 v91, 16, v52
	v_add_f16_e32 v97, v42, v28
	v_mov_b32_e32 v28, 0x3a95
	v_add_f16_e32 v96, v89, v43
	v_mul_f16_e32 v66, 0xb3a8, v87
	v_pk_fma_f16 v42, 0xb5ac, v44, v92 op_sel:[0,0,1] op_sel_hi:[0,1,0] neg_lo:[0,0,1] neg_hi:[0,0,1]
	v_fma_f16 v92, v91, 0x3b15, -v75
	v_mul_f16_e32 v85, 0xb94e, v87
	v_mul_f16_sdwa v89, v87, v28 dst_sel:DWORD dst_unused:UNUSED_PAD src0_sel:WORD_1 src1_sel:DWORD
	s_clause 0x1
	s_load_dwordx2 s[6:7], s[4:5], 0x20
	s_load_dwordx2 s[2:3], s[4:5], 0x8
	v_fma_f16 v43, v91, 0xbbc4, -v66
	v_pk_add_f16 v98, v42, v41
	v_add_f16_e32 v42, v92, v20
	v_fma_f16 v20, v91, 0xb9fd, -v85
	v_fmamk_f16 v28, v52, 0x388b, v89
	v_mul_f16_e32 v92, 0x3a95, v87
	v_mul_f16_e32 v99, 0xbb7b, v87
	v_mul_f16_sdwa v87, v87, v14 dst_sel:DWORD dst_unused:UNUSED_PAD src0_sel:WORD_1 src1_sel:DWORD
	v_add_f16_e32 v41, v43, v45
	v_add_f16_e32 v43, v20, v46
	;; [unrolled: 1-line block ×3, first 2 shown]
	v_fma_f16 v14, v91, 0x388b, -v92
	v_fmamk_f16 v20, v91, 0xb5ac, v99
	v_fma_f16 v49, v91, 0xb5ac, -v99
	v_pk_fma_f16 v93, 0x2fb7, v52, v93 op_sel:[0,0,1] op_sel_hi:[0,1,0] neg_lo:[0,0,1] neg_hi:[0,0,1]
	v_fmamk_f16 v99, v52, 0xb9fd, v87
	v_add_f16_e32 v46, v14, v95
	v_add_f16_e32 v28, v20, v48
	;; [unrolled: 1-line block ×3, first 2 shown]
	v_pk_add_f16 v49, v93, v98
	v_add_f16_e32 v20, v99, v40
	v_add_f16_e32 v14, v94, v96
	v_mul_lo_u16 v40, v34, 13
	s_waitcnt lgkmcnt(0)
	s_barrier
	buffer_gl0_inv
	s_and_saveexec_b32 s0, vcc_lo
	s_cbranch_execz .LBB0_7
; %bb.6:
	v_mul_f16_e32 v94, 0x3b15, v70
	v_mul_f16_e32 v96, 0x388b, v70
	;; [unrolled: 1-line block ×8, first 2 shown]
	v_add_f16_e32 v70, v73, v70
	v_mul_f16_e32 v93, 0x3b15, v32
	v_mul_f16_e32 v95, 0x388b, v32
	;; [unrolled: 1-line block ×4, first 2 shown]
	v_add_f16_sdwa v70, v70, v6 dst_sel:DWORD dst_unused:UNUSED_PAD src0_sel:DWORD src1_sel:WORD_1
	v_add_f16_e32 v71, v76, v71
	v_mul_f16_e32 v76, 0x3b15, v78
	v_mul_f16_e32 v99, 0x388b, v38
	;; [unrolled: 1-line block ×5, first 2 shown]
	v_add_f16_e32 v70, v71, v70
	v_add_f16_e32 v71, v81, v76
	v_sub_f16_e32 v32, v32, v64
	v_mul_f16_e32 v105, 0x2fb7, v37
	v_mul_f16_e32 v106, 0xbbc4, v37
	;; [unrolled: 1-line block ×4, first 2 shown]
	v_add_f16_e32 v70, v71, v70
	v_mul_f16_e32 v71, 0x2fb7, v82
	v_sub_f16_e32 v38, v38, v67
	v_add_f16_e32 v32, v32, v6
	v_pk_add_f16 v7, v7, v6
	v_mul_f16_e32 v109, 0xb5ac, v39
	v_mul_f16_e32 v81, 0xb9fd, v39
	;; [unrolled: 1-line block ×4, first 2 shown]
	v_add_f16_e32 v71, v84, v71
	v_add_f16_e32 v32, v38, v32
	v_sub_f16_e32 v37, v37, v77
	v_pk_add_f16 v7, v10, v7
	v_mul_f16_e32 v84, 0xb9fd, v44
	v_add_f16_e32 v70, v71, v70
	v_mul_f16_e32 v71, 0x2fb7, v44
	v_add_f16_e32 v32, v37, v32
	v_mul_f16_e32 v37, 0x388b, v44
	v_sub_f16_e32 v39, v39, v83
	v_mul_f16_e32 v44, 0xbbc4, v44
	v_sub_f16_e32 v24, v95, v24
	v_pk_add_f16 v7, v11, v7
	v_sub_f16_e32 v57, v97, v57
	v_add_f16_e32 v32, v39, v32
	v_sub_f16_e32 v44, v44, v88
	v_add_f16_e32 v24, v24, v6
	v_sub_f16_e32 v23, v101, v23
	v_pk_add_f16 v7, v8, v7
	v_add_f16_e32 v60, v60, v98
	v_add_f16_e32 v32, v44, v32
	;; [unrolled: 1-line block ×3, first 2 shown]
	v_sub_f16_e32 v57, v103, v58
	v_add_f16_e32 v54, v54, v96
	v_add_f16_e32 v23, v23, v24
	v_sub_f16_e32 v11, v106, v26
	v_add_f16_e32 v24, v50, v94
	v_sub_f16_e32 v19, v93, v19
	v_pk_add_f16 v7, v9, v7
	v_mul_f16_e32 v73, 0x2fb7, v78
	v_mul_f16_e32 v107, 0xbbc4, v78
	v_add_f16_sdwa v60, v60, v6 dst_sel:DWORD dst_unused:UNUSED_PAD src0_sel:DWORD src1_sel:WORD_1
	v_add_f16_e32 v44, v57, v44
	v_sub_f16_e32 v57, v108, v63
	v_add_f16_sdwa v54, v54, v6 dst_sel:DWORD dst_unused:UNUSED_PAD src0_sel:DWORD src1_sel:WORD_1
	v_add_f16_e32 v55, v55, v102
	v_add_f16_e32 v8, v11, v23
	v_add_f16_sdwa v11, v24, v6 dst_sel:DWORD dst_unused:UNUSED_PAD src0_sel:DWORD src1_sel:WORD_1
	v_add_f16_e32 v23, v51, v100
	v_add_f16_e32 v6, v19, v6
	v_sub_f16_e32 v9, v99, v22
	v_pk_add_f16 v4, v4, v7
	v_mul_f16_e32 v78, 0xb5ac, v78
	v_add_f16_e32 v59, v59, v104
	v_mul_f16_e32 v76, 0xb5ac, v82
	v_mul_f16_e32 v64, 0xb9fd, v82
	;; [unrolled: 1-line block ×3, first 2 shown]
	v_add_f16_e32 v44, v57, v44
	v_sub_f16_e32 v57, v67, v72
	v_add_f16_e32 v54, v55, v54
	v_add_f16_e32 v55, v62, v107
	v_add_f16_e32 v11, v23, v11
	v_add_f16_e32 v22, v53, v73
	v_add_f16_e32 v6, v9, v6
	v_sub_f16_e32 v7, v105, v25
	v_pk_add_f16 v4, v5, v4
	v_mul_f16_e32 v82, 0x3b15, v82
	v_add_f16_e32 v58, v59, v60
	v_add_f16_e32 v59, v65, v78
	v_mul_f16_e32 v77, 0xb9fd, v86
	v_add_f16_e32 v38, v90, v38
	v_mul_f16_e32 v90, 0x2fb7, v86
	v_mul_f16_e32 v83, 0x388b, v91
	;; [unrolled: 1-line block ×3, first 2 shown]
	v_add_f16_e32 v44, v57, v44
	v_sub_f16_e32 v37, v37, v79
	v_add_f16_e32 v54, v55, v54
	v_add_f16_e32 v55, v69, v64
	v_sub_f16_e32 v19, v81, v30
	v_add_f16_e32 v9, v22, v11
	v_add_f16_e32 v5, v56, v76
	v_add_f16_e32 v6, v7, v6
	v_sub_f16_e32 v7, v109, v27
	v_pk_add_f16 v2, v2, v4
	v_mul_f16_e32 v86, 0x388b, v86
	v_add_f16_e32 v58, v59, v58
	v_add_f16_e32 v59, v74, v82
	v_add_f16_e32 v38, v38, v70
	v_mul_f16_e32 v70, 0xbbc4, v52
	v_add_f16_e32 v83, v92, v83
	v_mul_f16_e32 v92, 0xbbc4, v91
	v_mul_f16_e32 v39, 0x3b15, v52
	;; [unrolled: 1-line block ×3, first 2 shown]
	v_add_f16_e32 v37, v37, v44
	v_sub_f16_e32 v44, v98, v87
	v_add_f16_e32 v54, v55, v54
	v_add_f16_e32 v55, v68, v90
	;; [unrolled: 1-line block ×3, first 2 shown]
	v_sub_f16_e32 v11, v71, v31
	v_add_f16_e32 v4, v5, v9
	v_add_f16_e32 v5, v61, v77
	;; [unrolled: 1-line block ×3, first 2 shown]
	v_sub_f16_e32 v7, v84, v29
	v_pk_add_f16 v2, v3, v2
	v_mul_f16_e32 v91, 0xb9fd, v91
	v_add_f16_e32 v58, v59, v58
	v_add_f16_e32 v59, v80, v86
	v_mul_f16_e32 v52, 0x388b, v52
	v_add_f16_e32 v37, v44, v37
	v_add_f16_e32 v44, v55, v54
	;; [unrolled: 1-line block ×7, first 2 shown]
	v_pk_add_f16 v0, v0, v2
	v_sub_f16_e32 v2, v70, v36
	v_sub_f16_e32 v7, v39, v47
	v_add_f16_e32 v57, v59, v58
	v_add_f16_e32 v58, v85, v91
	v_sub_f16_e32 v52, v52, v89
	v_add_f16_e32 v4, v5, v4
	v_and_b32_e32 v5, 0xffff, v40
	v_pk_add_f16 v0, v1, v0
	v_add_f16_e32 v1, v2, v6
	v_add_f16_e32 v2, v26, v44
	;; [unrolled: 1-line block ×5, first 2 shown]
	v_add_lshl_u32 v5, v21, v5, 2
	v_pk_add_f16 v0, v15, v0
	v_pack_b32_f16 v1, v1, v4
	v_pack_b32_f16 v2, v3, v2
	v_add_f16_e32 v3, v52, v32
	v_pack_b32_f16 v4, v37, v10
	ds_write2_b32 v5, v0, v1 offset1:1
	ds_write2_b32 v5, v2, v4 offset0:2 offset1:3
	v_pack_b32_f16 v0, v3, v38
	v_perm_b32 v1, v28, v14, 0x5040100
	v_bfi_b32 v2, 0xffff, v12, v49
	v_bfi_b32 v3, 0xffff, v49, v12
	v_perm_b32 v4, v46, v45, 0x5040100
	v_perm_b32 v6, v48, v13, 0x5040100
	;; [unrolled: 1-line block ×5, first 2 shown]
	ds_write2_b32 v5, v0, v1 offset0:4 offset1:5
	ds_write2_b32 v5, v3, v2 offset0:6 offset1:7
	;; [unrolled: 1-line block ×4, first 2 shown]
	ds_write_b32 v5, v9 offset:48
.LBB0_7:
	s_or_b32 exec_lo, exec_lo, s0
	v_add_lshl_u32 v37, v21, v34, 2
	s_waitcnt lgkmcnt(0)
	s_barrier
	buffer_gl0_inv
	v_cmp_gt_u16_e64 s0, 52, v34
	v_add_nc_u32_e32 v0, 0x200, v37
	v_lshrrev_b32_e32 v22, 16, v12
	ds_read2_b32 v[8:9], v37 offset1:117
	ds_read2_b32 v[10:11], v0 offset0:106 offset1:223
	ds_read_b32 v19, v37 offset:1872
	s_and_saveexec_b32 s1, s0
	s_cbranch_execz .LBB0_9
; %bb.8:
	v_add_nc_u32_e32 v0, 0x400, v37
	ds_read2_b32 v[14:15], v37 offset0:65 offset1:182
	ds_read_b32 v45, v37 offset:2132
	ds_read2_b32 v[12:13], v0 offset0:43 offset1:160
	s_waitcnt lgkmcnt(2)
	v_lshrrev_b32_e32 v28, 16, v14
	v_lshrrev_b32_e32 v22, 16, v15
	s_waitcnt lgkmcnt(1)
	v_lshrrev_b32_e32 v46, 16, v45
	s_waitcnt lgkmcnt(0)
	v_lshrrev_b32_e32 v48, 16, v13
	v_bfi_b32 v49, 0xffff, v15, v12
.LBB0_9:
	s_or_b32 exec_lo, exec_lo, s1
	v_and_b32_e32 v0, 0xff, v34
	v_mov_b32_e32 v3, 4
	v_mov_b32_e32 v15, 0x41
	s_waitcnt lgkmcnt(2)
	v_lshrrev_b32_e32 v25, 16, v9
	s_waitcnt lgkmcnt(1)
	v_lshrrev_b32_e32 v26, 16, v11
	v_mul_lo_u16 v0, 0x4f, v0
	s_waitcnt lgkmcnt(0)
	v_lshrrev_b32_e32 v27, 16, v19
	v_lshrrev_b32_e32 v29, 16, v49
	;; [unrolled: 1-line block ×3, first 2 shown]
	s_load_dwordx4 s[4:7], s[6:7], 0x0
	v_lshrrev_b16 v23, 10, v0
	v_add_nc_u16 v0, v34, 0x41
	v_mul_lo_u16 v1, v23, 13
	v_and_b32_e32 v2, 0xff, v0
	v_mul_u32_u24_sdwa v23, v23, v15 dst_sel:DWORD dst_unused:UNUSED_PAD src0_sel:WORD_0 src1_sel:DWORD
	v_sub_nc_u16 v24, v34, v1
	v_mul_lo_u16 v1, 0x4f, v2
	v_lshlrev_b32_sdwa v2, v3, v24 dst_sel:DWORD dst_unused:UNUSED_PAD src0_sel:DWORD src1_sel:BYTE_0
	v_lshrrev_b16 v39, 10, v1
	v_add_nc_u32_sdwa v23, v23, v24 dst_sel:DWORD dst_unused:UNUSED_PAD src0_sel:DWORD src1_sel:BYTE_0
	v_lshrrev_b32_e32 v24, 16, v10
	global_load_dwordx4 v[4:7], v2, s[2:3]
	v_mul_lo_u16 v1, v39, 13
	v_add_lshl_u32 v44, v21, v23, 2
	v_sub_nc_u16 v38, v0, v1
	v_lshlrev_b32_sdwa v0, v3, v38 dst_sel:DWORD dst_unused:UNUSED_PAD src0_sel:DWORD src1_sel:BYTE_0
	global_load_dwordx4 v[0:3], v0, s[2:3]
	s_waitcnt vmcnt(0) lgkmcnt(0)
	s_barrier
	buffer_gl0_inv
	v_mul_f16_sdwa v23, v25, v4 dst_sel:DWORD dst_unused:UNUSED_PAD src0_sel:DWORD src1_sel:WORD_1
	v_mul_f16_sdwa v30, v9, v4 dst_sel:DWORD dst_unused:UNUSED_PAD src0_sel:DWORD src1_sel:WORD_1
	;; [unrolled: 1-line block ×8, first 2 shown]
	v_fma_f16 v53, v9, v4, -v23
	v_fmac_f16_e32 v30, v25, v4
	v_fma_f16 v31, v10, v5, -v31
	v_fmac_f16_e32 v32, v24, v5
	;; [unrolled: 2-line block ×4, first 2 shown]
	v_mul_f16_sdwa v11, v22, v0 dst_sel:DWORD dst_unused:UNUSED_PAD src0_sel:DWORD src1_sel:WORD_1
	v_mul_f16_sdwa v24, v49, v0 dst_sel:DWORD dst_unused:UNUSED_PAD src0_sel:DWORD src1_sel:WORD_1
	v_mul_f16_sdwa v26, v29, v1 dst_sel:DWORD dst_unused:UNUSED_PAD src0_sel:DWORD src1_sel:WORD_1
	v_mul_f16_sdwa v23, v12, v1 dst_sel:DWORD dst_unused:UNUSED_PAD src0_sel:DWORD src1_sel:WORD_1
	v_mul_f16_sdwa v27, v48, v2 dst_sel:DWORD dst_unused:UNUSED_PAD src0_sel:DWORD src1_sel:WORD_1
	v_mul_f16_sdwa v10, v13, v2 dst_sel:DWORD dst_unused:UNUSED_PAD src0_sel:DWORD src1_sel:WORD_1
	v_mul_f16_sdwa v51, v46, v3 dst_sel:DWORD dst_unused:UNUSED_PAD src0_sel:DWORD src1_sel:WORD_1
	v_mul_f16_sdwa v9, v45, v3 dst_sel:DWORD dst_unused:UNUSED_PAD src0_sel:DWORD src1_sel:WORD_1
	v_fma_f16 v25, v49, v0, -v11
	v_fmac_f16_e32 v24, v22, v0
	v_fma_f16 v22, v12, v1, -v26
	v_fmac_f16_e32 v23, v29, v1
	;; [unrolled: 2-line block ×3, first 2 shown]
	v_fma_f16 v11, v45, v3, -v51
	v_add_f16_e32 v13, v8, v53
	v_add_f16_e32 v26, v31, v36
	v_sub_f16_e32 v27, v53, v31
	v_sub_f16_e32 v29, v19, v36
	v_add_f16_e32 v48, v53, v19
	v_sub_f16_e32 v49, v31, v53
	v_sub_f16_e32 v51, v36, v19
	v_add_f16_e32 v54, v47, v30
	v_add_f16_e32 v55, v32, v50
	v_sub_f16_e32 v57, v30, v32
	v_sub_f16_e32 v58, v52, v50
	v_add_f16_e32 v59, v30, v52
	v_fmac_f16_e32 v9, v46, v3
	v_sub_f16_e32 v45, v30, v52
	v_sub_f16_e32 v46, v32, v50
	;; [unrolled: 1-line block ×5, first 2 shown]
	v_add_f16_e32 v61, v13, v31
	v_fma_f16 v62, -0.5, v26, v8
	v_add_f16_e32 v63, v27, v29
	v_fmac_f16_e32 v8, -0.5, v48
	v_add_f16_e32 v48, v49, v51
	v_add_f16_e32 v27, v54, v32
	v_fma_f16 v49, -0.5, v55, v47
	v_add_f16_e32 v51, v57, v58
	v_add_f16_e32 v29, v22, v12
	;; [unrolled: 1-line block ×3, first 2 shown]
	v_sub_f16_e32 v56, v31, v36
	v_fmac_f16_e32 v47, -0.5, v59
	v_add_f16_e32 v54, v30, v60
	v_sub_f16_e32 v13, v24, v9
	v_sub_f16_e32 v32, v25, v22
	;; [unrolled: 1-line block ×4, first 2 shown]
	v_add_f16_e32 v60, v61, v36
	v_fmamk_f16 v61, v45, 0x3b9c, v62
	v_fmamk_f16 v64, v46, 0xbb9c, v8
	v_fmac_f16_e32 v8, 0x3b9c, v46
	v_add_f16_e32 v50, v27, v50
	v_fmamk_f16 v65, v53, 0xbb9c, v49
	v_fma_f16 v27, -0.5, v29, v14
	v_fma_f16 v29, -0.5, v57, v28
	v_fmamk_f16 v66, v56, 0x3b9c, v47
	v_fmac_f16_e32 v47, 0xbb9c, v56
	v_fmac_f16_e32 v62, 0xbb9c, v45
	;; [unrolled: 1-line block ×3, first 2 shown]
	v_sub_f16_e32 v26, v23, v10
	v_sub_f16_e32 v31, v22, v12
	;; [unrolled: 1-line block ×4, first 2 shown]
	v_add_f16_e32 v36, v32, v55
	v_add_f16_e32 v55, v60, v19
	v_fmac_f16_e32 v61, 0x38b4, v46
	v_fmac_f16_e32 v64, 0x38b4, v45
	;; [unrolled: 1-line block ×4, first 2 shown]
	v_fmamk_f16 v19, v13, 0xbb9c, v27
	v_fmamk_f16 v45, v30, 0x3b9c, v29
	v_fmac_f16_e32 v66, 0xb8b4, v53
	v_fmac_f16_e32 v47, 0x38b4, v53
	;; [unrolled: 1-line block ×4, first 2 shown]
	v_add_f16_e32 v32, v58, v59
	v_add_f16_e32 v46, v50, v52
	v_fmac_f16_e32 v61, 0x34f2, v63
	v_fmac_f16_e32 v65, 0x34f2, v51
	;; [unrolled: 1-line block ×10, first 2 shown]
	v_pack_b32_f16 v46, v55, v46
	v_fmac_f16_e32 v19, 0x34f2, v36
	v_pack_b32_f16 v48, v61, v65
	v_fmac_f16_e32 v45, 0x34f2, v32
	v_pack_b32_f16 v50, v64, v66
	v_pack_b32_f16 v8, v8, v47
	;; [unrolled: 1-line block ×3, first 2 shown]
	ds_write2_b32 v44, v46, v48 offset1:13
	ds_write2_b32 v44, v50, v8 offset0:26 offset1:39
	ds_write_b32 v44, v47 offset:208
	s_and_saveexec_b32 s1, s0
	s_cbranch_execz .LBB0_11
; %bb.10:
	v_add_f16_e32 v8, v24, v9
	v_add_f16_e32 v50, v25, v11
	v_mul_f16_e32 v46, 0x3b9c, v13
	v_mul_f16_e32 v48, 0x3b9c, v30
	;; [unrolled: 1-line block ×3, first 2 shown]
	v_fma_f16 v8, -0.5, v8, v28
	v_fma_f16 v50, -0.5, v50, v14
	v_sub_f16_e32 v51, v23, v24
	v_add_f16_e32 v24, v28, v24
	v_add_f16_e32 v14, v14, v25
	v_fmamk_f16 v53, v31, 0xbb9c, v8
	v_fmac_f16_e32 v8, 0x3b9c, v31
	v_fmamk_f16 v31, v26, 0x3b9c, v50
	v_fmac_f16_e32 v50, 0xbb9c, v26
	v_mul_f16_e32 v47, 0x38b4, v26
	v_sub_f16_e32 v54, v22, v25
	v_sub_f16_e32 v25, v29, v48
	v_fmac_f16_e32 v31, 0xb8b4, v13
	v_add_f16_e32 v23, v24, v23
	v_fmac_f16_e32 v50, 0x38b4, v13
	v_add_f16_e32 v13, v14, v22
	v_add_f16_e32 v14, v27, v46
	v_sub_f16_e32 v52, v10, v9
	v_sub_f16_e32 v55, v12, v11
	v_mul_f16_e32 v36, 0x34f2, v36
	v_mul_f16_e32 v32, 0x34f2, v32
	v_sub_f16_e32 v22, v25, v49
	v_add_f16_e32 v10, v23, v10
	v_mul_u32_u24_sdwa v15, v39, v15 dst_sel:DWORD dst_unused:UNUSED_PAD src0_sel:WORD_0 src1_sel:DWORD
	v_add_f16_e32 v12, v13, v12
	v_add_f16_e32 v13, v47, v14
	;; [unrolled: 1-line block ×3, first 2 shown]
	v_fmac_f16_e32 v53, 0x38b4, v30
	v_add_f16_e32 v52, v54, v55
	v_fmac_f16_e32 v8, 0xb8b4, v30
	v_add_f16_e32 v14, v32, v22
	v_add_f16_e32 v9, v10, v9
	v_add_nc_u32_sdwa v10, v15, v38 dst_sel:DWORD dst_unused:UNUSED_PAD src0_sel:DWORD src1_sel:BYTE_0
	v_add_f16_e32 v11, v12, v11
	v_add_f16_e32 v12, v36, v13
	v_fmac_f16_e32 v53, 0x34f2, v51
	v_fmac_f16_e32 v8, 0x34f2, v51
	;; [unrolled: 1-line block ×4, first 2 shown]
	v_add_lshl_u32 v10, v21, v10, 2
	v_pack_b32_f16 v9, v11, v9
	v_pack_b32_f16 v11, v12, v14
	;; [unrolled: 1-line block ×4, first 2 shown]
	v_perm_b32 v13, v45, v19, 0x5040100
	ds_write2_b32 v10, v9, v11 offset1:13
	ds_write2_b32 v10, v8, v12 offset0:26 offset1:39
	ds_write_b32 v10, v13 offset:208
.LBB0_11:
	s_or_b32 exec_lo, exec_lo, s1
	v_lshlrev_b32_e32 v8, 5, v34
	s_waitcnt lgkmcnt(0)
	s_barrier
	buffer_gl0_inv
	v_add_nc_u32_e32 v23, 0x200, v37
	s_clause 0x1
	global_load_dwordx4 v[12:15], v8, s[2:3] offset:208
	global_load_dwordx4 v[8:11], v8, s[2:3] offset:224
	v_add_nc_u32_e32 v25, 0x400, v37
	v_add_nc_u32_e32 v27, 0x600, v37
	ds_read_b32 v32, v37
	ds_read2_b32 v[21:22], v37 offset0:65 offset1:130
	ds_read2_b32 v[23:24], v23 offset0:67 offset1:132
	;; [unrolled: 1-line block ×4, first 2 shown]
	v_lshl_add_u32 v36, v34, 2, v35
	v_add_nc_u32_e32 v29, 0x200, v36
	v_add_nc_u32_e32 v30, 0x400, v36
	;; [unrolled: 1-line block ×3, first 2 shown]
	s_waitcnt lgkmcnt(2)
	v_lshrrev_b32_e32 v49, 16, v24
	v_lshrrev_b32_e32 v46, 16, v21
	;; [unrolled: 1-line block ×3, first 2 shown]
	s_waitcnt lgkmcnt(1)
	v_lshrrev_b32_e32 v50, 16, v25
	s_waitcnt lgkmcnt(0)
	v_lshrrev_b32_e32 v52, 16, v27
	v_lshrrev_b32_e32 v53, 16, v28
	;; [unrolled: 1-line block ×5, first 2 shown]
	s_waitcnt vmcnt(1)
	v_mul_f16_sdwa v55, v46, v12 dst_sel:DWORD dst_unused:UNUSED_PAD src0_sel:DWORD src1_sel:WORD_1
	v_mul_f16_sdwa v56, v21, v12 dst_sel:DWORD dst_unused:UNUSED_PAD src0_sel:DWORD src1_sel:WORD_1
	v_mul_f16_sdwa v57, v47, v13 dst_sel:DWORD dst_unused:UNUSED_PAD src0_sel:DWORD src1_sel:WORD_1
	v_mul_f16_sdwa v58, v22, v13 dst_sel:DWORD dst_unused:UNUSED_PAD src0_sel:DWORD src1_sel:WORD_1
	v_mul_f16_sdwa v61, v49, v15 dst_sel:DWORD dst_unused:UNUSED_PAD src0_sel:DWORD src1_sel:WORD_1
	s_waitcnt vmcnt(0)
	v_mul_f16_sdwa v63, v50, v8 dst_sel:DWORD dst_unused:UNUSED_PAD src0_sel:DWORD src1_sel:WORD_1
	v_mul_f16_sdwa v67, v52, v10 dst_sel:DWORD dst_unused:UNUSED_PAD src0_sel:DWORD src1_sel:WORD_1
	v_mul_f16_sdwa v68, v27, v10 dst_sel:DWORD dst_unused:UNUSED_PAD src0_sel:DWORD src1_sel:WORD_1
	v_mul_f16_sdwa v69, v53, v11 dst_sel:DWORD dst_unused:UNUSED_PAD src0_sel:DWORD src1_sel:WORD_1
	v_mul_f16_sdwa v70, v28, v11 dst_sel:DWORD dst_unused:UNUSED_PAD src0_sel:DWORD src1_sel:WORD_1
	v_mul_f16_sdwa v59, v48, v14 dst_sel:DWORD dst_unused:UNUSED_PAD src0_sel:DWORD src1_sel:WORD_1
	v_mul_f16_sdwa v60, v23, v14 dst_sel:DWORD dst_unused:UNUSED_PAD src0_sel:DWORD src1_sel:WORD_1
	v_mul_f16_sdwa v62, v24, v15 dst_sel:DWORD dst_unused:UNUSED_PAD src0_sel:DWORD src1_sel:WORD_1
	v_mul_f16_sdwa v64, v25, v8 dst_sel:DWORD dst_unused:UNUSED_PAD src0_sel:DWORD src1_sel:WORD_1
	v_mul_f16_sdwa v65, v51, v9 dst_sel:DWORD dst_unused:UNUSED_PAD src0_sel:DWORD src1_sel:WORD_1
	v_mul_f16_sdwa v66, v26, v9 dst_sel:DWORD dst_unused:UNUSED_PAD src0_sel:DWORD src1_sel:WORD_1
	v_fma_f16 v21, v21, v12, -v55
	v_fmac_f16_e32 v56, v46, v12
	v_fma_f16 v22, v22, v13, -v57
	v_fmac_f16_e32 v58, v47, v13
	v_fma_f16 v24, v24, v15, -v61
	v_fma_f16 v25, v25, v8, -v63
	;; [unrolled: 1-line block ×3, first 2 shown]
	v_fmac_f16_e32 v70, v53, v11
	v_fma_f16 v27, v27, v10, -v67
	v_fmac_f16_e32 v68, v52, v10
	v_fma_f16 v23, v23, v14, -v59
	v_fmac_f16_e32 v60, v48, v14
	v_fmac_f16_e32 v62, v49, v15
	;; [unrolled: 1-line block ×3, first 2 shown]
	v_fma_f16 v26, v26, v9, -v65
	v_fmac_f16_e32 v66, v51, v9
	v_add_f16_e32 v49, v21, v28
	v_add_f16_e32 v51, v56, v70
	;; [unrolled: 1-line block ×4, first 2 shown]
	v_sub_f16_e32 v28, v21, v28
	v_sub_f16_e32 v46, v24, v25
	v_add_f16_e32 v55, v23, v26
	v_add_f16_e32 v57, v60, v66
	v_sub_f16_e32 v53, v56, v70
	v_sub_f16_e32 v22, v22, v27
	;; [unrolled: 1-line block ×3, first 2 shown]
	v_add_f16_e32 v56, v24, v25
	v_add_f16_e32 v58, v62, v64
	v_mul_f16_e32 v59, 0x3924, v28
	v_mul_f16_e32 v65, 0xb924, v46
	v_add_f16_e32 v71, v50, v49
	v_add_f16_e32 v72, v52, v51
	v_mul_f16_e32 v73, 0x3be1, v46
	v_sub_f16_e32 v23, v23, v26
	v_sub_f16_e32 v26, v60, v66
	v_mul_f16_e32 v60, 0x3924, v53
	v_fmac_f16_e32 v59, 0x3be1, v22
	v_fmac_f16_e32 v65, 0x3be1, v28
	v_add_f16_e32 v75, v56, v71
	v_add_f16_e32 v76, v58, v72
	v_fma_f16 v73, v22, 0xb924, -v73
	v_add_f16_e32 v71, v55, v71
	v_add_f16_e32 v72, v57, v72
	;; [unrolled: 1-line block ×3, first 2 shown]
	v_fmac_f16_e32 v60, 0x3be1, v27
	v_fmac_f16_e32 v59, 0x3aee, v23
	;; [unrolled: 1-line block ×4, first 2 shown]
	v_add_f16_e32 v23, v24, v71
	v_add_f16_e32 v24, v62, v72
	v_sub_f16_e32 v47, v62, v64
	v_sub_f16_e32 v69, v69, v22
	v_fmac_f16_e32 v60, 0x3aee, v26
	v_fmac_f16_e32 v65, 0x3579, v22
	v_add_f16_e32 v22, v25, v23
	v_add_f16_e32 v23, v64, v24
	v_fmamk_f16 v61, v49, 0x3a21, v32
	v_fmamk_f16 v63, v51, 0x3a21, v54
	v_mul_f16_e32 v66, 0xb924, v47
	v_fmamk_f16 v67, v56, 0x3a21, v32
	v_fmamk_f16 v68, v58, 0x3a21, v54
	v_add_f16_e32 v70, v47, v53
	v_add_f16_e32 v21, v55, v32
	;; [unrolled: 1-line block ×3, first 2 shown]
	v_mul_f16_e32 v74, 0x3be1, v47
	v_fmac_f16_e32 v59, 0x3579, v46
	v_fmac_f16_e32 v60, 0x3579, v47
	v_add_f16_e32 v46, v22, v32
	v_add_f16_e32 v47, v23, v54
	v_fmac_f16_e32 v32, 0x3a21, v50
	v_fmac_f16_e32 v54, 0x3a21, v52
	;; [unrolled: 1-line block ×7, first 2 shown]
	v_fma_f16 v74, v27, 0xb924, -v74
	v_fmac_f16_e32 v32, 0x318f, v56
	v_fmac_f16_e32 v54, 0x318f, v58
	v_fmac_f16_e32 v61, -0.5, v55
	v_fmac_f16_e32 v63, -0.5, v57
	v_fmac_f16_e32 v66, 0xbaee, v26
	v_fmac_f16_e32 v67, -0.5, v55
	v_fmac_f16_e32 v68, -0.5, v57
	;; [unrolled: 3-line block ×3, first 2 shown]
	v_fmac_f16_e32 v61, 0xbb84, v56
	v_fmac_f16_e32 v63, 0xbb84, v58
	;; [unrolled: 1-line block ×5, first 2 shown]
	v_sub_f16_e32 v70, v70, v27
	v_fmac_f16_e32 v21, -0.5, v75
	v_fmac_f16_e32 v48, -0.5, v76
	v_fmac_f16_e32 v73, 0x3579, v28
	v_fmac_f16_e32 v74, 0x3579, v53
	;; [unrolled: 1-line block ×4, first 2 shown]
	v_add_f16_e32 v27, v60, v61
	v_sub_f16_e32 v53, v63, v59
	v_add_f16_e32 v28, v66, v67
	v_sub_f16_e32 v52, v68, v65
	v_mul_f16_e32 v77, 0x3aee, v69
	v_mul_f16_e32 v78, 0x3aee, v70
	v_fmac_f16_e32 v21, 0x3aee, v70
	v_fmac_f16_e32 v48, 0xbaee, v69
	v_add_f16_e32 v22, v74, v32
	v_sub_f16_e32 v54, v54, v73
	v_fma_f16 v26, -2.0, v60, v27
	v_fma_f16 v49, 2.0, v59, v53
	v_fma_f16 v25, -2.0, v66, v28
	v_fma_f16 v51, 2.0, v65, v52
	;; [unrolled: 2-line block ×4, first 2 shown]
	v_pack_b32_f16 v32, v46, v47
	v_pack_b32_f16 v57, v27, v53
	;; [unrolled: 1-line block ×9, first 2 shown]
	ds_write_b32 v36, v32
	ds_write2_b32 v36, v57, v58 offset0:65 offset1:130
	ds_write2_b32 v31, v60, v61 offset0:71 offset1:136
	;; [unrolled: 1-line block ×4, first 2 shown]
	s_waitcnt lgkmcnt(0)
	s_barrier
	buffer_gl0_inv
	s_and_saveexec_b32 s2, vcc_lo
	s_cbranch_execz .LBB0_13
; %bb.12:
	v_add_co_u32 v32, s1, s20, v33
	v_add_co_ci_u32_e64 v59, null, s21, 0, s1
	v_add_co_u32 v56, s1, 0x800, v32
	v_add_co_ci_u32_e64 v57, s1, 0, v59, s1
	global_load_dword v60, v[56:57], off offset:292
	v_add_co_u32 v56, s1, 0x924, v32
	v_add_co_ci_u32_e64 v57, s1, 0, v59, s1
	v_add_co_u32 v58, s1, 0x1000, v32
	s_clause 0x6
	global_load_dword v68, v[56:57], off offset:180
	global_load_dword v69, v[56:57], off offset:360
	;; [unrolled: 1-line block ×7, first 2 shown]
	v_add_co_ci_u32_e64 v59, s1, 0, v59, s1
	s_clause 0x4
	global_load_dword v32, v[56:57], off offset:1440
	global_load_dword v75, v[56:57], off offset:1620
	;; [unrolled: 1-line block ×5, first 2 shown]
	ds_read_b32 v56, v36
	s_waitcnt lgkmcnt(0)
	v_lshrrev_b32_e32 v57, 16, v56
	s_waitcnt vmcnt(12)
	v_mul_f16_sdwa v58, v57, v60 dst_sel:DWORD dst_unused:UNUSED_PAD src0_sel:DWORD src1_sel:WORD_1
	v_mul_f16_sdwa v59, v56, v60 dst_sel:DWORD dst_unused:UNUSED_PAD src0_sel:DWORD src1_sel:WORD_1
	v_fma_f16 v56, v56, v60, -v58
	v_fmac_f16_e32 v59, v57, v60
	v_pack_b32_f16 v56, v56, v59
	ds_write_b32 v36, v56
	ds_read2_b32 v[56:57], v36 offset0:45 offset1:90
	ds_read2_b32 v[58:59], v36 offset0:135 offset1:180
	;; [unrolled: 1-line block ×6, first 2 shown]
	s_waitcnt lgkmcnt(5)
	v_lshrrev_b32_e32 v79, 16, v56
	s_waitcnt vmcnt(11)
	v_mul_f16_sdwa v80, v56, v68 dst_sel:DWORD dst_unused:UNUSED_PAD src0_sel:DWORD src1_sel:WORD_1
	v_lshrrev_b32_e32 v81, 16, v57
	s_waitcnt vmcnt(10)
	v_mul_f16_sdwa v82, v57, v69 dst_sel:DWORD dst_unused:UNUSED_PAD src0_sel:DWORD src1_sel:WORD_1
	s_waitcnt lgkmcnt(4)
	v_lshrrev_b32_e32 v83, 16, v58
	s_waitcnt vmcnt(9)
	v_mul_f16_sdwa v84, v58, v70 dst_sel:DWORD dst_unused:UNUSED_PAD src0_sel:DWORD src1_sel:WORD_1
	v_lshrrev_b32_e32 v85, 16, v59
	s_waitcnt vmcnt(8)
	v_mul_f16_sdwa v86, v59, v71 dst_sel:DWORD dst_unused:UNUSED_PAD src0_sel:DWORD src1_sel:WORD_1
	;; [unrolled: 7-line block ×5, first 2 shown]
	s_waitcnt lgkmcnt(0)
	v_lshrrev_b32_e32 v99, 16, v66
	s_waitcnt vmcnt(0)
	v_mul_f16_sdwa v100, v66, v78 dst_sel:DWORD dst_unused:UNUSED_PAD src0_sel:DWORD src1_sel:WORD_1
	v_lshrrev_b32_e32 v101, 16, v67
	v_mul_f16_sdwa v103, v79, v68 dst_sel:DWORD dst_unused:UNUSED_PAD src0_sel:DWORD src1_sel:WORD_1
	v_fmac_f16_e32 v80, v79, v68
	v_mul_f16_sdwa v79, v81, v69 dst_sel:DWORD dst_unused:UNUSED_PAD src0_sel:DWORD src1_sel:WORD_1
	v_fmac_f16_e32 v82, v81, v69
	;; [unrolled: 2-line block ×9, first 2 shown]
	v_mul_f16_sdwa v95, v97, v76 dst_sel:DWORD dst_unused:UNUSED_PAD src0_sel:DWORD src1_sel:WORD_1
	v_mul_f16_sdwa v102, v67, v77 dst_sel:DWORD dst_unused:UNUSED_PAD src0_sel:DWORD src1_sel:WORD_1
	v_fmac_f16_e32 v98, v97, v76
	v_mul_f16_sdwa v97, v99, v78 dst_sel:DWORD dst_unused:UNUSED_PAD src0_sel:DWORD src1_sel:WORD_1
	v_fmac_f16_e32 v100, v99, v78
	v_mul_f16_sdwa v99, v101, v77 dst_sel:DWORD dst_unused:UNUSED_PAD src0_sel:DWORD src1_sel:WORD_1
	v_fma_f16 v56, v56, v68, -v103
	v_fma_f16 v57, v57, v69, -v79
	;; [unrolled: 1-line block ×10, first 2 shown]
	v_fmac_f16_e32 v102, v101, v77
	v_fma_f16 v65, v66, v78, -v97
	v_fma_f16 v66, v67, v77, -v99
	v_pack_b32_f16 v56, v56, v80
	v_pack_b32_f16 v57, v57, v82
	;; [unrolled: 1-line block ×12, first 2 shown]
	ds_write2_b32 v36, v56, v57 offset0:45 offset1:90
	ds_write2_b32 v36, v58, v59 offset0:135 offset1:180
	;; [unrolled: 1-line block ×6, first 2 shown]
.LBB0_13:
	s_or_b32 exec_lo, exec_lo, s2
	s_waitcnt lgkmcnt(0)
	s_barrier
	buffer_gl0_inv
	s_and_saveexec_b32 s1, vcc_lo
	s_cbranch_execz .LBB0_15
; %bb.14:
	v_add_nc_u32_e32 v17, 0x200, v36
	v_add_nc_u32_e32 v18, 0x400, v36
	ds_read_b32 v46, v36
	ds_read2_b32 v[27:28], v36 offset0:45 offset1:90
	ds_read2_b32 v[21:22], v36 offset0:135 offset1:180
	ds_read2_b32 v[23:24], v17 offset0:97 offset1:142
	v_add_nc_u32_e32 v17, 0x600, v36
	ds_read2_b32 v[25:26], v18 offset0:59 offset1:104
	ds_read2_b32 v[19:20], v18 offset0:149 offset1:194
	;; [unrolled: 1-line block ×3, first 2 shown]
	s_waitcnt lgkmcnt(6)
	v_lshrrev_b32_e32 v47, 16, v46
	s_waitcnt lgkmcnt(5)
	v_lshrrev_b32_e32 v53, 16, v27
	v_lshrrev_b32_e32 v52, 16, v28
	s_waitcnt lgkmcnt(4)
	v_lshrrev_b32_e32 v48, 16, v21
	;; [unrolled: 3-line block ×6, first 2 shown]
	v_lshrrev_b32_e32 v41, 16, v18
.LBB0_15:
	s_or_b32 exec_lo, exec_lo, s1
	v_sub_f16_e32 v70, v53, v41
	v_add_f16_e32 v74, v41, v53
	v_add_f16_e32 v62, v18, v27
	v_sub_f16_e32 v73, v52, v42
	v_sub_f16_e32 v63, v27, v18
	v_mul_f16_e32 v83, 0xbb7b, v70
	v_mul_f16_e32 v86, 0xb5ac, v74
	;; [unrolled: 1-line block ×3, first 2 shown]
	v_add_f16_e32 v78, v42, v52
	v_add_f16_e32 v64, v17, v28
	v_fma_f16 v31, v62, 0xb5ac, -v83
	v_mul_f16_e32 v88, 0x394e, v73
	v_mul_f16_e32 v30, 0xb9fd, v74
	v_fmamk_f16 v32, v63, 0xbb7b, v86
	v_fmamk_f16 v56, v62, 0xb9fd, v29
	v_mul_f16_e32 v57, 0xb3a8, v70
	v_add_f16_e32 v31, v46, v31
	v_fma_f16 v29, v62, 0xb9fd, -v29
	v_sub_f16_e32 v65, v28, v17
	v_mul_f16_e32 v89, 0xb9fd, v78
	v_mul_f16_e32 v66, 0x3bf1, v73
	v_fma_f16 v67, v64, 0xb9fd, -v88
	v_mul_f16_e32 v58, 0xbbc4, v74
	v_add_f16_e32 v32, v47, v32
	v_add_f16_e32 v56, v46, v56
	v_fmamk_f16 v59, v63, 0x394e, v30
	v_fmamk_f16 v60, v62, 0xbbc4, v57
	v_add_f16_e32 v29, v46, v29
	v_fmamk_f16 v68, v65, 0x394e, v89
	v_fmamk_f16 v69, v64, 0x2fb7, v66
	v_mul_f16_e32 v71, 0x2fb7, v78
	v_add_f16_e32 v31, v67, v31
	v_mul_f16_e32 v67, 0x3770, v73
	v_fma_f16 v66, v64, 0x2fb7, -v66
	v_sub_f16_e32 v77, v48, v43
	v_fmamk_f16 v61, v63, 0x33a8, v58
	v_add_f16_e32 v59, v47, v59
	v_add_f16_e32 v60, v46, v60
	;; [unrolled: 1-line block ×4, first 2 shown]
	v_fmamk_f16 v68, v65, 0xbbf1, v71
	v_mul_f16_e32 v69, 0x3b15, v78
	v_fmamk_f16 v72, v64, 0x3b15, v67
	v_add_f16_e32 v29, v66, v29
	v_add_f16_e32 v66, v20, v21
	v_mul_f16_e32 v90, 0x3770, v77
	v_fmac_f16_e32 v30, 0xb94e, v63
	v_add_f16_e32 v61, v47, v61
	v_fma_f16 v57, v62, 0xbbc4, -v57
	v_add_f16_e32 v59, v68, v59
	v_fmamk_f16 v68, v65, 0xb770, v69
	v_add_f16_e32 v60, v72, v60
	v_add_f16_e32 v80, v43, v48
	v_fma_f16 v72, v66, 0x3b15, -v90
	v_add_f16_e32 v30, v47, v30
	v_fmac_f16_e32 v58, 0xb3a8, v63
	v_add_f16_e32 v57, v46, v57
	v_fmac_f16_e32 v71, 0x3bf1, v65
	v_add_f16_e32 v61, v68, v61
	v_fma_f16 v68, v64, 0x3b15, -v67
	v_sub_f16_e32 v67, v21, v20
	v_mul_f16_e32 v91, 0x3b15, v80
	v_add_f16_e32 v31, v72, v31
	v_mul_f16_e32 v72, 0xb9fd, v80
	v_add_f16_e32 v58, v47, v58
	v_add_f16_e32 v30, v71, v30
	v_mul_f16_e32 v71, 0xba95, v77
	v_fmac_f16_e32 v69, 0x3770, v65
	v_add_f16_e32 v57, v68, v57
	v_fmamk_f16 v68, v67, 0x3770, v91
	v_fmamk_f16 v79, v67, 0x394e, v72
	;; [unrolled: 1-line block ×3, first 2 shown]
	v_add_f16_e32 v58, v69, v58
	v_mul_f16_e32 v69, 0x388b, v80
	v_add_f16_e32 v32, v68, v32
	v_mul_f16_e32 v68, 0xb94e, v77
	v_fma_f16 v71, v66, 0x388b, -v71
	v_add_f16_e32 v61, v79, v61
	v_sub_f16_e32 v79, v54, v45
	v_add_f16_e32 v56, v75, v56
	v_fmamk_f16 v75, v67, 0x3a95, v69
	v_fmamk_f16 v76, v66, 0xb9fd, v68
	v_add_f16_e32 v29, v71, v29
	v_fma_f16 v71, v66, 0xb9fd, -v68
	v_add_f16_e32 v68, v19, v22
	v_mul_f16_e32 v92, 0xbbf1, v79
	v_fmac_f16_e32 v69, 0xba95, v67
	v_add_f16_e32 v59, v75, v59
	v_add_f16_e32 v82, v45, v54
	v_mul_f16_e32 v75, 0x33a8, v79
	v_add_f16_e32 v57, v71, v57
	v_fma_f16 v71, v68, 0x2fb7, -v92
	v_add_f16_e32 v30, v69, v30
	v_sub_f16_e32 v69, v22, v19
	v_mul_f16_e32 v93, 0x2fb7, v82
	v_fmac_f16_e32 v72, 0xb94e, v67
	v_fmamk_f16 v81, v68, 0xbbc4, v75
	v_add_f16_e32 v31, v71, v31
	v_mul_f16_e32 v71, 0x3a95, v79
	v_add_f16_e32 v60, v76, v60
	v_fmamk_f16 v76, v69, 0xbbf1, v93
	v_add_f16_e32 v58, v72, v58
	v_mul_f16_e32 v72, 0xbbc4, v82
	v_add_f16_e32 v56, v81, v56
	v_fmamk_f16 v81, v68, 0x388b, v71
	v_add_f16_e32 v32, v76, v32
	v_mul_f16_e32 v85, 0x388b, v82
	v_fmamk_f16 v76, v69, 0xb3a8, v72
	v_fma_f16 v75, v68, 0xbbc4, -v75
	v_fmac_f16_e32 v72, 0x33a8, v69
	v_add_f16_e32 v60, v81, v60
	v_sub_f16_e32 v81, v55, v49
	v_add_f16_e32 v84, v49, v55
	v_add_f16_e32 v59, v76, v59
	v_fmamk_f16 v76, v69, 0xba95, v85
	v_add_f16_e32 v29, v75, v29
	v_add_f16_e32 v30, v72, v30
	v_fma_f16 v75, v68, 0x388b, -v71
	v_add_f16_e32 v71, v26, v23
	v_mul_f16_e32 v94, 0x33a8, v81
	v_sub_f16_e32 v72, v23, v26
	v_mul_f16_e32 v95, 0xbbc4, v84
	v_fmac_f16_e32 v85, 0x3a95, v69
	v_add_f16_e32 v61, v76, v61
	v_mul_f16_e32 v76, 0x3770, v81
	v_fma_f16 v87, v71, 0xbbc4, -v94
	v_add_f16_e32 v57, v75, v57
	v_fmamk_f16 v75, v72, 0x33a8, v95
	v_add_f16_e32 v58, v85, v58
	v_mul_f16_e32 v85, 0x3b15, v84
	v_fmamk_f16 v96, v71, 0x3b15, v76
	v_add_f16_e32 v31, v87, v31
	v_add_f16_e32 v32, v75, v32
	v_mul_f16_e32 v75, 0xbb7b, v81
	v_mul_f16_e32 v98, 0xb5ac, v84
	v_fmamk_f16 v87, v72, 0xb770, v85
	v_fmac_f16_e32 v85, 0x3770, v72
	v_add_f16_e32 v56, v96, v56
	v_fma_f16 v76, v71, 0x3b15, -v76
	v_fmamk_f16 v96, v71, 0xb5ac, v75
	v_fmamk_f16 v97, v72, 0x3b7b, v98
	v_add_f16_e32 v59, v87, v59
	v_add_f16_e32 v99, v85, v30
	v_sub_f16_e32 v85, v50, v51
	v_add_f16_e32 v87, v51, v50
	v_fma_f16 v30, v71, 0xb5ac, -v75
	v_add_f16_e32 v29, v76, v29
	v_add_f16_e32 v60, v96, v60
	;; [unrolled: 1-line block ×4, first 2 shown]
	v_sub_f16_e32 v76, v24, v25
	v_mul_f16_e32 v96, 0x3a95, v85
	v_mul_f16_e32 v97, 0x388b, v87
	v_add_f16_e32 v100, v30, v57
	v_mul_f16_e32 v57, 0xbb7b, v85
	v_fmac_f16_e32 v98, 0xbb7b, v72
	v_fma_f16 v30, v75, 0x388b, -v96
	v_fmamk_f16 v101, v76, 0x3a95, v97
	v_mul_f16_e32 v102, 0xb5ac, v87
	v_fmamk_f16 v103, v75, 0xb5ac, v57
	v_add_f16_e32 v98, v98, v58
	v_add_f16_e32 v30, v30, v31
	;; [unrolled: 1-line block ×3, first 2 shown]
	v_fmamk_f16 v31, v76, 0x3b7b, v102
	v_fma_f16 v32, v75, 0xb5ac, -v57
	v_add_f16_e32 v56, v103, v56
	v_mul_f16_e32 v101, 0x3bf1, v85
	v_mul_f16_e32 v103, 0x2fb7, v87
	v_add_f16_e32 v57, v31, v59
	v_add_f16_e32 v29, v32, v29
	v_fmac_f16_e32 v102, 0xbb7b, v76
	v_fmamk_f16 v31, v75, 0x2fb7, v101
	v_fmamk_f16 v32, v76, 0xbbf1, v103
	v_fma_f16 v101, v75, 0x2fb7, -v101
	v_fmac_f16_e32 v103, 0x3bf1, v76
	v_add_f16_e32 v59, v102, v99
	v_add_f16_e32 v31, v31, v60
	;; [unrolled: 1-line block ×5, first 2 shown]
	s_barrier
	buffer_gl0_inv
	s_and_saveexec_b32 s1, vcc_lo
	s_cbranch_execz .LBB0_17
; %bb.16:
	v_mul_f16_e32 v98, 0xbb7b, v63
	v_mul_f16_e32 v101, 0x394e, v65
	;; [unrolled: 1-line block ×3, first 2 shown]
	v_add_f16_e32 v27, v27, v46
	v_mul_f16_e32 v100, 0xb9fd, v64
	v_sub_f16_e32 v86, v86, v98
	v_mul_f16_e32 v98, 0x3770, v67
	v_sub_f16_e32 v89, v89, v101
	v_mul_f16_e32 v104, 0xbbf1, v69
	v_add_f16_e32 v83, v99, v83
	v_add_f16_e32 v86, v47, v86
	v_sub_f16_e32 v91, v91, v98
	v_add_f16_e32 v27, v28, v27
	v_mul_f16_e32 v102, 0x3b15, v66
	v_mul_f16_e32 v105, 0x33a8, v72
	v_add_f16_e32 v86, v89, v86
	v_sub_f16_e32 v93, v93, v104
	v_add_f16_e32 v88, v100, v88
	v_add_f16_e32 v83, v46, v83
	;; [unrolled: 1-line block ×4, first 2 shown]
	v_mul_f16_e32 v91, 0x2fb7, v74
	v_mul_f16_e32 v103, 0x2fb7, v68
	v_sub_f16_e32 v95, v95, v105
	v_add_f16_e32 v90, v102, v90
	v_add_f16_e32 v83, v88, v83
	;; [unrolled: 1-line block ×3, first 2 shown]
	v_mul_f16_e32 v88, 0x3a95, v76
	v_mul_f16_e32 v93, 0xbbc4, v78
	v_fmamk_f16 v98, v63, 0x3bf1, v91
	v_add_f16_e32 v21, v22, v21
	v_mul_f16_e32 v101, 0xbbc4, v71
	v_add_f16_e32 v83, v90, v83
	v_add_f16_e32 v86, v95, v86
	;; [unrolled: 1-line block ×3, first 2 shown]
	v_sub_f16_e32 v88, v97, v88
	v_add_f16_e32 v92, v47, v98
	v_fmamk_f16 v95, v65, 0x33a8, v93
	v_mul_f16_e32 v97, 0xb5ac, v80
	v_add_f16_e32 v21, v23, v21
	v_mul_f16_e32 v89, 0x388b, v75
	v_add_f16_e32 v83, v90, v83
	v_add_f16_e32 v90, v101, v94
	v_add_f16_e32 v86, v88, v86
	v_add_f16_e32 v88, v95, v92
	v_fmamk_f16 v92, v67, 0xbb7b, v97
	v_mul_f16_e32 v94, 0x3b15, v82
	v_add_f16_e32 v27, v53, v47
	v_add_f16_e32 v21, v24, v21
	;; [unrolled: 1-line block ×4, first 2 shown]
	v_mul_f16_e32 v90, 0xbbf1, v70
	v_add_f16_e32 v88, v92, v88
	v_fmamk_f16 v92, v69, 0xb770, v94
	v_mul_f16_e32 v95, 0x388b, v84
	v_add_f16_e32 v22, v52, v27
	v_add_f16_e32 v21, v25, v21
	v_add_f16_e32 v83, v89, v83
	v_fmamk_f16 v89, v62, 0x2fb7, v90
	v_mul_f16_e32 v96, 0xb3a8, v73
	v_add_f16_e32 v88, v92, v88
	v_fmamk_f16 v92, v72, 0x3a95, v95
	v_mul_f16_e32 v98, 0xb9fd, v87
	v_add_f16_e32 v22, v48, v22
	v_add_f16_e32 v21, v26, v21
	v_add_f16_e32 v89, v46, v89
	v_fmamk_f16 v99, v64, 0xbbc4, v96
	v_mul_f16_e32 v100, 0x3b7b, v77
	v_add_f16_e32 v88, v92, v88
	v_fmamk_f16 v92, v76, 0x394e, v98
	v_mul_f16_e32 v101, 0x388b, v74
	v_add_f16_e32 v22, v54, v22
	v_add_f16_e32 v19, v19, v21
	v_add_f16_e32 v89, v99, v89
	v_fmamk_f16 v99, v66, 0xb5ac, v100
	v_mul_f16_e32 v102, 0x3770, v79
	v_add_f16_e32 v88, v92, v88
	v_fmamk_f16 v92, v63, 0x3a95, v101
	v_mul_f16_e32 v103, 0xb5ac, v78
	v_mul_f16_e32 v109, 0xba95, v70
	;; [unrolled: 1-line block ×3, first 2 shown]
	v_add_f16_e32 v22, v55, v22
	v_add_f16_e32 v19, v20, v19
	;; [unrolled: 1-line block ×3, first 2 shown]
	v_fmamk_f16 v99, v68, 0x3b15, v102
	v_mul_f16_e32 v104, 0xba95, v81
	v_add_f16_e32 v92, v47, v92
	v_fmamk_f16 v105, v65, 0x3b7b, v103
	v_mul_f16_e32 v106, 0xbbc4, v80
	v_mul_f16_e32 v111, 0xbb7b, v73
	v_fmamk_f16 v53, v62, 0x3b15, v70
	v_mul_f16_e32 v73, 0xba95, v73
	v_add_f16_e32 v22, v50, v22
	v_add_f16_e32 v17, v17, v19
	v_fma_f16 v19, v62, 0x2fb7, -v90
	v_add_f16_e32 v89, v99, v89
	v_fmamk_f16 v99, v71, 0x388b, v104
	v_mul_f16_e32 v107, 0xb94e, v85
	v_add_f16_e32 v92, v105, v92
	v_fmamk_f16 v105, v67, 0x33a8, v106
	v_mul_f16_e32 v108, 0xb9fd, v82
	;; [unrolled: 3-line block ×3, first 2 shown]
	v_add_f16_e32 v21, v51, v22
	v_add_f16_e32 v17, v18, v17
	;; [unrolled: 1-line block ×3, first 2 shown]
	v_fma_f16 v19, v64, 0xbbc4, -v96
	v_add_f16_e32 v89, v99, v89
	v_fmamk_f16 v99, v75, 0xb9fd, v107
	v_add_f16_e32 v92, v105, v92
	v_fmamk_f16 v105, v69, 0xb94e, v108
	v_mul_f16_e32 v110, 0x2fb7, v84
	v_add_f16_e32 v27, v52, v27
	v_fmamk_f16 v48, v66, 0x2fb7, v53
	v_mul_f16_e32 v24, 0xbb7b, v79
	v_add_f16_e32 v20, v49, v21
	v_add_f16_e32 v18, v19, v18
	v_fma_f16 v19, v66, 0xb5ac, -v100
	v_add_f16_e32 v89, v99, v89
	v_fmamk_f16 v99, v62, 0x388b, v109
	v_add_f16_e32 v92, v105, v92
	v_fmamk_f16 v105, v72, 0xbbf1, v110
	v_mul_f16_e32 v112, 0x3b15, v87
	v_add_f16_e32 v27, v48, v27
	v_fmamk_f16 v25, v68, 0xb5ac, v24
	v_mul_f16_e32 v48, 0xb94e, v81
	v_add_f16_e32 v20, v45, v20
	v_add_f16_e32 v18, v19, v18
	v_fma_f16 v19, v68, 0x3b15, -v102
	v_add_f16_e32 v99, v46, v99
	v_fmamk_f16 v113, v64, 0xb5ac, v111
	v_mul_f16_e32 v114, 0xb3a8, v77
	v_add_f16_e32 v92, v105, v92
	v_fmamk_f16 v105, v76, 0xb770, v112
	v_mul_f16_e32 v74, 0x3b15, v74
	v_add_f16_e32 v25, v25, v27
	v_fmamk_f16 v26, v71, 0xb9fd, v48
	v_add_f16_e32 v20, v43, v20
	v_add_f16_e32 v18, v19, v18
	v_fma_f16 v19, v71, 0x388b, -v104
	v_add_f16_e32 v99, v113, v99
	v_fmamk_f16 v113, v66, 0xbbc4, v114
	v_mul_f16_e32 v115, 0x394e, v79
	v_add_f16_e32 v92, v105, v92
	v_fmamk_f16 v105, v63, 0x3770, v74
	v_mul_f16_e32 v78, 0x388b, v78
	v_mul_f16_e32 v27, 0xb3a8, v85
	v_add_f16_e32 v22, v26, v25
	v_add_f16_e32 v20, v42, v20
	;; [unrolled: 1-line block ×3, first 2 shown]
	v_fma_f16 v19, v75, 0xb9fd, -v107
	v_fma_f16 v26, v62, 0x388b, -v109
	v_add_f16_e32 v99, v113, v99
	v_fmamk_f16 v113, v68, 0xb9fd, v115
	v_mul_f16_e32 v116, 0x3bf1, v81
	v_add_f16_e32 v105, v47, v105
	v_fmamk_f16 v117, v65, 0x3a95, v78
	v_mul_f16_e32 v80, 0x2fb7, v80
	v_fmac_f16_e32 v91, 0xbbf1, v63
	v_fmamk_f16 v25, v75, 0xbbc4, v27
	v_fmac_f16_e32 v101, 0xba95, v63
	v_add_f16_e32 v20, v41, v20
	v_add_f16_e32 v18, v19, v18
	;; [unrolled: 1-line block ×3, first 2 shown]
	v_fma_f16 v26, v64, 0xb5ac, -v111
	v_fmac_f16_e32 v74, 0xb770, v63
	v_fma_f16 v41, v62, 0x3b15, -v70
	v_add_f16_e32 v99, v113, v99
	v_fmamk_f16 v113, v71, 0x2fb7, v116
	v_mul_f16_e32 v118, 0x3770, v85
	v_add_f16_e32 v105, v117, v105
	v_fmamk_f16 v117, v67, 0x3bf1, v80
	v_mul_f16_e32 v82, 0xb5ac, v82
	v_add_f16_e32 v21, v47, v91
	v_fmac_f16_e32 v93, 0xb3a8, v65
	v_add_f16_e32 v22, v25, v22
	v_add_f16_e32 v25, v47, v101
	v_fmac_f16_e32 v103, 0xbb7b, v65
	v_add_f16_e32 v19, v26, v19
	v_fma_f16 v26, v66, 0xbbc4, -v114
	v_add_f16_e32 v42, v47, v74
	v_fmac_f16_e32 v78, 0xba95, v65
	v_add_f16_e32 v41, v46, v41
	v_fma_f16 v43, v64, 0x388b, -v73
	v_add_f16_e32 v99, v113, v99
	v_fmamk_f16 v113, v75, 0x3b15, v118
	v_add_f16_e32 v105, v117, v105
	v_fmamk_f16 v117, v69, 0x3b7b, v82
	v_mul_f16_e32 v84, 0xb9fd, v84
	v_add_f16_e32 v21, v93, v21
	v_fmac_f16_e32 v97, 0x3b7b, v67
	v_add_f16_e32 v25, v103, v25
	v_fmac_f16_e32 v106, 0xb3a8, v67
	v_add_f16_e32 v19, v26, v19
	v_fma_f16 v26, v68, 0xb9fd, -v115
	v_add_f16_e32 v42, v78, v42
	v_fmac_f16_e32 v80, 0xbbf1, v67
	v_add_f16_e32 v41, v43, v41
	v_fma_f16 v43, v66, 0x2fb7, -v53
	v_add_f16_e32 v28, v113, v99
	v_add_f16_e32 v99, v117, v105
	v_fmamk_f16 v105, v72, 0x394e, v84
	v_mul_f16_e32 v23, 0xbbc4, v87
	v_add_f16_e32 v21, v97, v21
	v_fmac_f16_e32 v94, 0x3770, v69
	v_add_f16_e32 v25, v106, v25
	v_fmac_f16_e32 v108, 0x394e, v69
	v_add_f16_e32 v19, v26, v19
	v_fma_f16 v26, v71, 0x2fb7, -v116
	v_add_f16_e32 v42, v80, v42
	v_fmac_f16_e32 v82, 0xbb7b, v69
	v_add_f16_e32 v41, v43, v41
	v_fma_f16 v24, v68, 0xb5ac, -v24
	v_add_f16_e32 v99, v105, v99
	v_fmamk_f16 v52, v76, 0x33a8, v23
	v_add_f16_e32 v21, v94, v21
	v_fmac_f16_e32 v95, 0xba95, v72
	v_add_f16_e32 v25, v108, v25
	v_fmac_f16_e32 v110, 0x3bf1, v72
	v_add_f16_e32 v19, v26, v19
	v_add_f16_e32 v26, v82, v42
	v_fmac_f16_e32 v84, 0xb94e, v72
	v_add_f16_e32 v24, v24, v41
	v_fma_f16 v41, v71, 0xb9fd, -v48
	v_add_f16_e32 v52, v52, v99
	v_and_b32_e32 v40, 0xffff, v40
	v_add_f16_e32 v21, v95, v21
	v_fmac_f16_e32 v98, 0xb94e, v76
	v_add_f16_e32 v25, v110, v25
	v_fmac_f16_e32 v112, 0x3770, v76
	v_fma_f16 v42, v75, 0x3b15, -v118
	v_add_f16_e32 v26, v84, v26
	v_fmac_f16_e32 v23, 0xb3a8, v76
	v_add_f16_e32 v24, v41, v24
	v_fma_f16 v27, v75, 0xbbc4, -v27
	v_lshl_add_u32 v40, v40, 2, v35
	v_pack_b32_f16 v22, v22, v52
	v_pack_b32_f16 v17, v17, v20
	;; [unrolled: 1-line block ×4, first 2 shown]
	v_add_f16_e32 v21, v98, v21
	v_add_f16_e32 v25, v112, v25
	;; [unrolled: 1-line block ×5, first 2 shown]
	ds_write2_b32 v40, v17, v22 offset1:1
	ds_write2_b32 v40, v28, v20 offset0:2 offset1:3
	v_pack_b32_f16 v17, v83, v86
	v_perm_b32 v20, v57, v56, 0x5040100
	v_perm_b32 v22, v60, v32, 0x5040100
	;; [unrolled: 1-line block ×5, first 2 shown]
	v_pack_b32_f16 v19, v19, v25
	v_pack_b32_f16 v18, v18, v21
	;; [unrolled: 1-line block ×3, first 2 shown]
	ds_write2_b32 v40, v17, v20 offset0:4 offset1:5
	ds_write2_b32 v40, v26, v22 offset0:6 offset1:7
	;; [unrolled: 1-line block ×4, first 2 shown]
	ds_write_b32 v40, v21 offset:48
.LBB0_17:
	s_or_b32 exec_lo, exec_lo, s1
	v_add_nc_u32_e32 v22, 0x200, v37
	s_waitcnt lgkmcnt(0)
	s_barrier
	buffer_gl0_inv
	ds_read2_b32 v[17:18], v37 offset1:117
	ds_read2_b32 v[19:20], v22 offset0:106 offset1:223
	ds_read_b32 v21, v37 offset:1872
	s_and_saveexec_b32 s1, s0
	s_cbranch_execz .LBB0_19
; %bb.18:
	v_add_nc_u32_e32 v23, 0x600, v37
	ds_read_b32 v56, v37 offset:260
	ds_read2_b32 v[31:32], v22 offset0:54 offset1:171
	ds_read2_b32 v[29:30], v23 offset0:32 offset1:149
	s_waitcnt lgkmcnt(2)
	v_lshrrev_b32_e32 v57, 16, v56
	s_waitcnt lgkmcnt(1)
	v_lshrrev_b32_e32 v61, 16, v31
	v_lshrrev_b32_e32 v60, 16, v32
	s_waitcnt lgkmcnt(0)
	v_lshrrev_b32_e32 v59, 16, v29
	v_lshrrev_b32_e32 v58, 16, v30
.LBB0_19:
	s_or_b32 exec_lo, exec_lo, s1
	s_waitcnt lgkmcnt(1)
	v_lshrrev_b32_e32 v22, 16, v19
	v_lshrrev_b32_e32 v23, 16, v20
	;; [unrolled: 1-line block ×3, first 2 shown]
	s_waitcnt lgkmcnt(0)
	v_lshrrev_b32_e32 v25, 16, v21
	v_mul_f16_sdwa v28, v4, v18 dst_sel:DWORD dst_unused:UNUSED_PAD src0_sel:WORD_1 src1_sel:DWORD
	v_mul_f16_sdwa v26, v5, v22 dst_sel:DWORD dst_unused:UNUSED_PAD src0_sel:WORD_1 src1_sel:DWORD
	v_mul_f16_sdwa v27, v6, v23 dst_sel:DWORD dst_unused:UNUSED_PAD src0_sel:WORD_1 src1_sel:DWORD
	v_mul_f16_sdwa v40, v5, v19 dst_sel:DWORD dst_unused:UNUSED_PAD src0_sel:WORD_1 src1_sel:DWORD
	v_mul_f16_sdwa v41, v4, v24 dst_sel:DWORD dst_unused:UNUSED_PAD src0_sel:WORD_1 src1_sel:DWORD
	v_fma_f16 v24, v4, v24, -v28
	v_fmac_f16_e32 v26, v5, v19
	v_fmac_f16_e32 v27, v6, v20
	v_mul_f16_sdwa v19, v7, v21 dst_sel:DWORD dst_unused:UNUSED_PAD src0_sel:WORD_1 src1_sel:DWORD
	v_mul_f16_sdwa v20, v6, v20 dst_sel:DWORD dst_unused:UNUSED_PAD src0_sel:WORD_1 src1_sel:DWORD
	v_fmac_f16_e32 v41, v4, v18
	v_fma_f16 v5, v5, v22, -v40
	v_add_f16_e32 v4, v26, v27
	v_fma_f16 v18, v7, v25, -v19
	v_mul_f16_sdwa v19, v7, v25 dst_sel:DWORD dst_unused:UNUSED_PAD src0_sel:WORD_1 src1_sel:DWORD
	v_add_f16_e32 v22, v17, v41
	v_fma_f16 v6, v6, v23, -v20
	v_fma_f16 v4, -0.5, v4, v17
	v_sub_f16_e32 v25, v24, v18
	v_fmac_f16_e32 v19, v7, v21
	v_add_f16_e32 v7, v22, v26
	v_sub_f16_e32 v22, v5, v6
	v_sub_f16_e32 v23, v41, v26
	v_fmamk_f16 v21, v25, 0xbb9c, v4
	v_sub_f16_e32 v28, v19, v27
	v_fmac_f16_e32 v4, 0x3b9c, v25
	v_add_f16_e32 v40, v41, v19
	v_lshrrev_b32_e32 v20, 16, v17
	v_fmac_f16_e32 v21, 0xb8b4, v22
	v_add_f16_e32 v23, v23, v28
	v_fmac_f16_e32 v4, 0x38b4, v22
	v_fmac_f16_e32 v17, -0.5, v40
	v_add_f16_e32 v7, v7, v27
	v_add_f16_e32 v28, v5, v6
	v_fmac_f16_e32 v21, 0x34f2, v23
	v_fmac_f16_e32 v4, 0x34f2, v23
	v_fmamk_f16 v23, v22, 0x3b9c, v17
	v_sub_f16_e32 v40, v26, v41
	v_sub_f16_e32 v42, v27, v19
	v_fmac_f16_e32 v17, 0xbb9c, v22
	v_add_f16_e32 v7, v7, v19
	v_add_f16_e32 v22, v20, v24
	v_sub_f16_e32 v19, v41, v19
	v_add_f16_e32 v41, v24, v18
	v_fma_f16 v28, -0.5, v28, v20
	v_fmac_f16_e32 v23, 0xb8b4, v25
	v_add_f16_e32 v40, v40, v42
	v_fmac_f16_e32 v17, 0x38b4, v25
	v_add_f16_e32 v22, v22, v5
	v_sub_f16_e32 v26, v26, v27
	v_fmac_f16_e32 v20, -0.5, v41
	v_fmamk_f16 v25, v19, 0x3b9c, v28
	v_fmac_f16_e32 v23, 0x34f2, v40
	v_fmac_f16_e32 v17, 0x34f2, v40
	v_sub_f16_e32 v27, v24, v5
	v_sub_f16_e32 v40, v18, v6
	v_add_f16_e32 v22, v22, v6
	v_fmamk_f16 v41, v26, 0xbb9c, v20
	v_sub_f16_e32 v5, v5, v24
	v_sub_f16_e32 v6, v6, v18
	v_fmac_f16_e32 v20, 0x3b9c, v26
	v_fmac_f16_e32 v28, 0xbb9c, v19
	;; [unrolled: 1-line block ×3, first 2 shown]
	v_add_f16_e32 v24, v27, v40
	v_fmac_f16_e32 v41, 0x38b4, v19
	v_add_f16_e32 v5, v5, v6
	v_fmac_f16_e32 v20, 0xb8b4, v19
	v_fmac_f16_e32 v28, 0xb8b4, v26
	v_add_f16_e32 v6, v22, v18
	v_fmac_f16_e32 v25, 0x34f2, v24
	v_fmac_f16_e32 v41, 0x34f2, v5
	;; [unrolled: 1-line block ×4, first 2 shown]
	v_pack_b32_f16 v5, v7, v6
	v_pack_b32_f16 v6, v21, v25
	;; [unrolled: 1-line block ×5, first 2 shown]
	s_barrier
	buffer_gl0_inv
	ds_write2_b32 v44, v5, v6 offset1:13
	ds_write2_b32 v44, v7, v17 offset0:26 offset1:39
	ds_write_b32 v44, v4 offset:208
	s_and_saveexec_b32 s1, s0
	s_cbranch_execz .LBB0_21
; %bb.20:
	v_mul_f16_sdwa v4, v0, v31 dst_sel:DWORD dst_unused:UNUSED_PAD src0_sel:WORD_1 src1_sel:DWORD
	v_mul_f16_sdwa v6, v3, v30 dst_sel:DWORD dst_unused:UNUSED_PAD src0_sel:WORD_1 src1_sel:DWORD
	;; [unrolled: 1-line block ×7, first 2 shown]
	v_fma_f16 v4, v0, v61, -v4
	v_mul_f16_sdwa v18, v2, v59 dst_sel:DWORD dst_unused:UNUSED_PAD src0_sel:WORD_1 src1_sel:DWORD
	v_fma_f16 v6, v3, v58, -v6
	v_fmac_f16_e32 v19, v0, v31
	v_fmac_f16_e32 v20, v3, v30
	;; [unrolled: 1-line block ×4, first 2 shown]
	v_add_f16_e32 v21, v6, v4
	v_fma_f16 v0, v1, v60, -v5
	v_fma_f16 v1, v2, v59, -v7
	v_add_f16_e32 v5, v20, v19
	v_sub_f16_e32 v2, v17, v18
	v_fma_f16 v3, -0.5, v21, v57
	v_sub_f16_e32 v7, v0, v4
	v_sub_f16_e32 v23, v0, v1
	v_fma_f16 v5, -0.5, v5, v56
	v_sub_f16_e32 v21, v1, v6
	v_fmamk_f16 v22, v2, 0x3b9c, v3
	v_sub_f16_e32 v24, v19, v20
	v_sub_f16_e32 v25, v17, v19
	;; [unrolled: 1-line block ×4, first 2 shown]
	v_fmamk_f16 v28, v23, 0xbb9c, v5
	v_fmac_f16_e32 v3, 0xbb9c, v2
	v_fmac_f16_e32 v5, 0x3b9c, v23
	v_add_f16_e32 v7, v21, v7
	v_fmac_f16_e32 v22, 0xb8b4, v24
	v_add_f16_e32 v21, v26, v25
	;; [unrolled: 2-line block ×3, first 2 shown]
	v_fmac_f16_e32 v3, 0x38b4, v24
	v_fmac_f16_e32 v5, 0xb8b4, v27
	v_sub_f16_e32 v26, v4, v0
	v_sub_f16_e32 v29, v6, v1
	v_add_f16_e32 v30, v18, v17
	v_fmac_f16_e32 v22, 0x34f2, v7
	v_fmac_f16_e32 v28, 0x34f2, v21
	v_fma_f16 v25, -0.5, v25, v57
	v_fmac_f16_e32 v3, 0x34f2, v7
	v_fmac_f16_e32 v5, 0x34f2, v21
	v_add_f16_e32 v7, v29, v26
	v_fma_f16 v21, -0.5, v30, v56
	v_sub_f16_e32 v26, v19, v17
	v_add_f16_e32 v4, v4, v57
	v_sub_f16_e32 v29, v20, v18
	v_add_f16_e32 v19, v56, v19
	v_fmamk_f16 v31, v24, 0x3b9c, v25
	v_fmamk_f16 v30, v27, 0xbb9c, v21
	v_add_f16_e32 v0, v0, v4
	v_add_f16_e32 v4, v29, v26
	v_mov_b32_e32 v26, 0x41
	v_add_f16_e32 v17, v17, v19
	v_fmac_f16_e32 v25, 0xbb9c, v24
	v_fmac_f16_e32 v21, 0x3b9c, v27
	;; [unrolled: 1-line block ×4, first 2 shown]
	v_add_f16_e32 v0, v1, v0
	v_mul_u32_u24_sdwa v1, v39, v26 dst_sel:DWORD dst_unused:UNUSED_PAD src0_sel:WORD_0 src1_sel:DWORD
	v_add_f16_e32 v17, v18, v17
	v_fmac_f16_e32 v25, 0xb8b4, v2
	v_fmac_f16_e32 v21, 0x38b4, v23
	;; [unrolled: 1-line block ×3, first 2 shown]
	v_add_f16_e32 v0, v6, v0
	v_add_nc_u32_sdwa v1, v1, v38 dst_sel:DWORD dst_unused:UNUSED_PAD src0_sel:DWORD src1_sel:BYTE_0
	v_add_f16_e32 v2, v20, v17
	v_fmac_f16_e32 v30, 0x34f2, v4
	v_fmac_f16_e32 v25, 0x34f2, v7
	;; [unrolled: 1-line block ×3, first 2 shown]
	v_lshl_add_u32 v1, v1, 2, v35
	v_pack_b32_f16 v0, v2, v0
	v_pack_b32_f16 v2, v30, v31
	;; [unrolled: 1-line block ×5, first 2 shown]
	ds_write2_b32 v1, v0, v2 offset1:13
	ds_write2_b32 v1, v3, v4 offset0:26 offset1:39
	ds_write_b32 v1, v5 offset:208
.LBB0_21:
	s_or_b32 exec_lo, exec_lo, s1
	s_waitcnt lgkmcnt(0)
	s_barrier
	buffer_gl0_inv
	ds_read2_b32 v[0:1], v37 offset0:65 offset1:130
	v_add_nc_u32_e32 v2, 0x200, v37
	v_add_nc_u32_e32 v4, 0x400, v37
	;; [unrolled: 1-line block ×3, first 2 shown]
	ds_read_b32 v17, v37
	ds_read2_b32 v[2:3], v2 offset0:67 offset1:132
	ds_read2_b32 v[4:5], v4 offset0:69 offset1:134
	ds_read2_b32 v[6:7], v6 offset0:71 offset1:136
	s_waitcnt lgkmcnt(4)
	v_lshrrev_b32_e32 v19, 16, v0
	v_lshrrev_b32_e32 v20, 16, v1
	v_mul_f16_sdwa v21, v12, v0 dst_sel:DWORD dst_unused:UNUSED_PAD src0_sel:WORD_1 src1_sel:DWORD
	v_mul_f16_sdwa v22, v13, v1 dst_sel:DWORD dst_unused:UNUSED_PAD src0_sel:WORD_1 src1_sel:DWORD
	s_waitcnt lgkmcnt(2)
	v_lshrrev_b32_e32 v23, 16, v2
	v_lshrrev_b32_e32 v24, 16, v3
	s_waitcnt lgkmcnt(1)
	v_lshrrev_b32_e32 v25, 16, v4
	v_mul_f16_sdwa v29, v12, v19 dst_sel:DWORD dst_unused:UNUSED_PAD src0_sel:WORD_1 src1_sel:DWORD
	v_fma_f16 v19, v12, v19, -v21
	v_mul_f16_sdwa v21, v13, v20 dst_sel:DWORD dst_unused:UNUSED_PAD src0_sel:WORD_1 src1_sel:DWORD
	v_lshrrev_b32_e32 v26, 16, v5
	s_waitcnt lgkmcnt(0)
	v_lshrrev_b32_e32 v27, 16, v6
	v_lshrrev_b32_e32 v28, 16, v7
	v_fma_f16 v20, v13, v20, -v22
	v_mul_f16_sdwa v22, v14, v2 dst_sel:DWORD dst_unused:UNUSED_PAD src0_sel:WORD_1 src1_sel:DWORD
	v_mul_f16_sdwa v30, v15, v3 dst_sel:DWORD dst_unused:UNUSED_PAD src0_sel:WORD_1 src1_sel:DWORD
	;; [unrolled: 1-line block ×3, first 2 shown]
	v_fmac_f16_e32 v29, v12, v0
	v_mul_f16_sdwa v0, v14, v23 dst_sel:DWORD dst_unused:UNUSED_PAD src0_sel:WORD_1 src1_sel:DWORD
	v_fmac_f16_e32 v21, v13, v1
	v_mul_f16_sdwa v1, v15, v24 dst_sel:DWORD dst_unused:UNUSED_PAD src0_sel:WORD_1 src1_sel:DWORD
	v_mul_f16_sdwa v13, v8, v25 dst_sel:DWORD dst_unused:UNUSED_PAD src0_sel:WORD_1 src1_sel:DWORD
	v_fma_f16 v12, v14, v23, -v22
	v_fmac_f16_e32 v0, v14, v2
	v_mul_f16_sdwa v2, v9, v26 dst_sel:DWORD dst_unused:UNUSED_PAD src0_sel:WORD_1 src1_sel:DWORD
	v_fmac_f16_e32 v1, v15, v3
	v_fma_f16 v3, v15, v24, -v30
	v_fmac_f16_e32 v13, v8, v4
	v_fma_f16 v4, v8, v25, -v31
	v_mul_f16_sdwa v8, v11, v28 dst_sel:DWORD dst_unused:UNUSED_PAD src0_sel:WORD_1 src1_sel:DWORD
	v_mul_f16_sdwa v14, v11, v7 dst_sel:DWORD dst_unused:UNUSED_PAD src0_sel:WORD_1 src1_sel:DWORD
	;; [unrolled: 1-line block ×4, first 2 shown]
	v_fmac_f16_e32 v2, v9, v5
	v_mul_f16_sdwa v5, v9, v5 dst_sel:DWORD dst_unused:UNUSED_PAD src0_sel:WORD_1 src1_sel:DWORD
	v_fmac_f16_e32 v8, v11, v7
	v_fma_f16 v7, v11, v28, -v14
	v_fmac_f16_e32 v15, v10, v6
	v_fma_f16 v6, v10, v27, -v22
	v_fma_f16 v5, v9, v26, -v5
	v_add_f16_e32 v9, v29, v8
	v_add_f16_e32 v10, v19, v7
	;; [unrolled: 1-line block ×4, first 2 shown]
	v_sub_f16_e32 v8, v29, v8
	v_add_f16_e32 v22, v0, v2
	v_sub_f16_e32 v15, v21, v15
	v_add_f16_e32 v21, v12, v5
	v_add_f16_e32 v31, v11, v9
	;; [unrolled: 1-line block ×3, first 2 shown]
	v_sub_f16_e32 v7, v19, v7
	v_mul_f16_e32 v19, 0x3924, v8
	v_sub_f16_e32 v24, v3, v4
	v_add_f16_e32 v38, v22, v31
	v_add_f16_e32 v39, v21, v32
	v_sub_f16_e32 v0, v0, v2
	v_fmac_f16_e32 v19, 0x3be1, v15
	v_sub_f16_e32 v23, v1, v13
	v_add_f16_e32 v25, v1, v13
	v_add_f16_e32 v26, v3, v4
	v_mul_f16_e32 v27, 0xb924, v24
	v_add_f16_e32 v1, v1, v38
	v_add_f16_e32 v3, v3, v39
	v_lshrrev_b32_e32 v18, 16, v17
	v_sub_f16_e32 v2, v12, v5
	v_fmac_f16_e32 v19, 0x3aee, v0
	v_fmamk_f16 v28, v25, 0x3a21, v17
	v_fmac_f16_e32 v27, 0x3be1, v7
	v_add_f16_e32 v1, v13, v1
	v_add_f16_e32 v3, v4, v3
	v_sub_f16_e32 v6, v20, v6
	v_mul_f16_e32 v20, 0x3924, v7
	v_fmamk_f16 v5, v9, 0x3a21, v17
	v_fmamk_f16 v12, v10, 0x3a21, v18
	v_fmac_f16_e32 v19, 0x3579, v23
	v_mul_f16_e32 v29, 0xb924, v23
	v_fmamk_f16 v30, v26, 0x3a21, v18
	v_fmac_f16_e32 v28, 0x318f, v9
	v_fmac_f16_e32 v27, 0xbaee, v2
	v_add_f16_e32 v35, v23, v8
	v_add_f16_e32 v37, v24, v7
	;; [unrolled: 1-line block ×4, first 2 shown]
	v_mul_f16_e32 v13, 0x3be1, v23
	v_mul_f16_e32 v23, 0x3be1, v24
	v_add_f16_e32 v1, v1, v17
	v_add_f16_e32 v3, v3, v18
	v_fmac_f16_e32 v17, 0x3a21, v11
	v_fmac_f16_e32 v18, 0x3a21, v14
	;; [unrolled: 1-line block ×3, first 2 shown]
	v_fmac_f16_e32 v28, -0.5, v22
	v_fmac_f16_e32 v27, 0x3579, v6
	v_sub_f16_e32 v37, v37, v6
	v_fma_f16 v13, v15, 0xb924, -v13
	v_fma_f16 v6, v6, 0xb924, -v23
	v_fmac_f16_e32 v17, 0x318f, v25
	v_fmac_f16_e32 v18, 0x318f, v26
	;; [unrolled: 1-line block ×7, first 2 shown]
	v_add_f16_e32 v4, v25, v31
	v_add_f16_e32 v11, v26, v32
	v_fmac_f16_e32 v13, 0x3aee, v0
	v_fmac_f16_e32 v6, 0x3aee, v2
	v_fmac_f16_e32 v17, -0.5, v22
	v_fmac_f16_e32 v18, -0.5, v21
	v_fmac_f16_e32 v20, 0x3aee, v2
	v_fmac_f16_e32 v5, -0.5, v22
	v_fmac_f16_e32 v12, -0.5, v21
	v_fmac_f16_e32 v29, 0xbaee, v0
	v_fmac_f16_e32 v30, -0.5, v21
	v_sub_f16_e32 v35, v35, v15
	v_fmac_f16_e32 v39, -0.5, v4
	v_fmac_f16_e32 v40, -0.5, v11
	v_fmac_f16_e32 v13, 0x3579, v8
	v_fmac_f16_e32 v6, 0x3579, v7
	;; [unrolled: 1-line block ×9, first 2 shown]
	v_mul_f16_e32 v38, 0x3aee, v35
	v_mul_f16_e32 v0, 0x3aee, v37
	v_fmac_f16_e32 v39, 0xbaee, v37
	v_fmac_f16_e32 v40, 0x3aee, v35
	v_sub_f16_e32 v2, v17, v6
	v_add_f16_e32 v4, v13, v18
	v_sub_f16_e32 v5, v5, v20
	v_add_f16_e32 v12, v19, v12
	;; [unrolled: 2-line block ×3, first 2 shown]
	v_fma_f16 v8, 2.0, v0, v39
	v_fma_f16 v9, -2.0, v38, v40
	v_fma_f16 v6, 2.0, v6, v2
	v_fma_f16 v10, -2.0, v13, v4
	;; [unrolled: 2-line block ×4, first 2 shown]
	v_pack_b32_f16 v1, v1, v3
	v_pack_b32_f16 v3, v5, v12
	;; [unrolled: 1-line block ×3, first 2 shown]
	v_add_nc_u32_e32 v0, 0x200, v36
	v_add_nc_u32_e32 v5, 0x400, v36
	;; [unrolled: 1-line block ×3, first 2 shown]
	v_pack_b32_f16 v11, v28, v30
	v_pack_b32_f16 v12, v39, v40
	;; [unrolled: 1-line block ×6, first 2 shown]
	ds_write_b32 v36, v1
	ds_write2_b32 v36, v3, v11 offset0:65 offset1:130
	ds_write2_b32 v0, v12, v2 offset0:67 offset1:132
	;; [unrolled: 1-line block ×4, first 2 shown]
	s_waitcnt lgkmcnt(0)
	s_barrier
	buffer_gl0_inv
	s_and_b32 exec_lo, exec_lo, vcc_lo
	s_cbranch_execz .LBB0_23
; %bb.22:
	s_clause 0x5
	global_load_dword v2, v33, s[20:21]
	global_load_dword v3, v33, s[20:21] offset:180
	global_load_dword v12, v33, s[20:21] offset:360
	;; [unrolled: 1-line block ×5, first 2 shown]
	v_mad_u64_u32 v[14:15], null, s6, v16, 0
	v_mad_u64_u32 v[17:18], null, s4, v34, 0
	ds_read_b32 v27, v36
	ds_read2_b32 v[19:20], v36 offset0:45 offset1:90
	ds_read2_b32 v[21:22], v36 offset0:135 offset1:180
	;; [unrolled: 1-line block ×3, first 2 shown]
	v_mov_b32_e32 v8, v15
	s_mov_b32 s22, 0x1c01c01c
	v_mov_b32_e32 v9, v18
	s_mov_b32 s23, 0x3f5c01c0
	v_add_co_u32 v6, s0, s20, v33
	v_add_co_ci_u32_e64 v7, null, s21, 0, s0
	v_mad_u64_u32 v[15:16], null, s7, v16, v[8:9]
	v_mad_u64_u32 v[23:24], null, s5, v34, v[9:10]
	s_mul_i32 s0, s5, 0xb4
	s_mul_hi_u32 s24, s4, 0xb4
	s_mul_i32 s19, s4, 0xb4
	s_add_i32 s24, s24, s0
	v_lshlrev_b64 v[14:15], 2, v[14:15]
	s_waitcnt lgkmcnt(3)
	v_lshrrev_b32_e32 v24, 16, v27
	s_waitcnt lgkmcnt(2)
	v_lshrrev_b32_e32 v28, 16, v19
	v_mov_b32_e32 v18, v23
	v_lshrrev_b32_e32 v29, 16, v20
	s_waitcnt lgkmcnt(1)
	v_lshrrev_b32_e32 v23, 16, v21
	v_add_co_u32 v32, vcc_lo, s8, v14
	v_lshlrev_b64 v[16:17], 2, v[17:18]
	v_add_co_ci_u32_e32 v40, vcc_lo, s9, v15, vcc_lo
	v_lshrrev_b32_e32 v30, 16, v22
	s_waitcnt lgkmcnt(0)
	v_lshrrev_b32_e32 v31, 16, v0
	s_clause 0x1
	global_load_dword v11, v33, s[20:21] offset:1080
	global_load_dword v8, v33, s[20:21] offset:1260
	v_add_co_u32 v16, vcc_lo, v32, v16
	v_add_co_ci_u32_e32 v17, vcc_lo, v40, v17, vcc_lo
	s_clause 0x1
	global_load_dword v9, v33, s[20:21] offset:1440
	global_load_dword v10, v33, s[20:21] offset:1620
	v_add_co_u32 v40, vcc_lo, v16, s19
	s_waitcnt vmcnt(9)
	v_mul_f16_sdwa v14, v24, v2 dst_sel:DWORD dst_unused:UNUSED_PAD src0_sel:DWORD src1_sel:WORD_1
	v_mul_f16_sdwa v15, v27, v2 dst_sel:DWORD dst_unused:UNUSED_PAD src0_sel:DWORD src1_sel:WORD_1
	s_waitcnt vmcnt(8)
	v_mul_f16_sdwa v18, v28, v3 dst_sel:DWORD dst_unused:UNUSED_PAD src0_sel:DWORD src1_sel:WORD_1
	v_mul_f16_sdwa v34, v19, v3 dst_sel:DWORD dst_unused:UNUSED_PAD src0_sel:DWORD src1_sel:WORD_1
	s_waitcnt vmcnt(7)
	v_mul_f16_sdwa v35, v29, v12 dst_sel:DWORD dst_unused:UNUSED_PAD src0_sel:DWORD src1_sel:WORD_1
	v_fmac_f16_e32 v14, v27, v2
	v_mul_f16_sdwa v36, v20, v12 dst_sel:DWORD dst_unused:UNUSED_PAD src0_sel:DWORD src1_sel:WORD_1
	s_waitcnt vmcnt(6)
	v_mul_f16_sdwa v37, v23, v13 dst_sel:DWORD dst_unused:UNUSED_PAD src0_sel:DWORD src1_sel:WORD_1
	v_mul_f16_sdwa v38, v21, v13 dst_sel:DWORD dst_unused:UNUSED_PAD src0_sel:DWORD src1_sel:WORD_1
	v_fma_f16 v2, v2, v24, -v15
	v_fmac_f16_e32 v18, v19, v3
	v_fma_f16 v15, v3, v28, -v34
	v_cvt_f32_f16_e32 v3, v14
	s_waitcnt vmcnt(5)
	v_mul_f16_sdwa v39, v30, v25 dst_sel:DWORD dst_unused:UNUSED_PAD src0_sel:DWORD src1_sel:WORD_1
	v_mul_f16_sdwa v41, v22, v25 dst_sel:DWORD dst_unused:UNUSED_PAD src0_sel:DWORD src1_sel:WORD_1
	v_fmac_f16_e32 v35, v20, v12
	v_fma_f16 v12, v12, v29, -v36
	v_fmac_f16_e32 v37, v21, v13
	v_fma_f16 v19, v13, v23, -v38
	v_cvt_f32_f16_e32 v13, v2
	v_cvt_f64_f32_e32 v[2:3], v3
	v_fmac_f16_e32 v39, v22, v25
	v_fma_f16 v14, v25, v30, -v41
	v_cvt_f32_f16_e32 v18, v18
	v_cvt_f32_f16_e32 v22, v12
	v_cvt_f64_f32_e32 v[12:13], v13
	s_waitcnt vmcnt(4)
	v_mul_f16_sdwa v42, v31, v26 dst_sel:DWORD dst_unused:UNUSED_PAD src0_sel:DWORD src1_sel:WORD_1
	v_mul_f16_sdwa v43, v0, v26 dst_sel:DWORD dst_unused:UNUSED_PAD src0_sel:DWORD src1_sel:WORD_1
	v_cvt_f32_f16_e32 v20, v15
	v_cvt_f32_f16_e32 v30, v14
	v_cvt_f64_f32_e32 v[14:15], v18
	v_fmac_f16_e32 v42, v0, v26
	v_fma_f16 v0, v26, v31, -v43
	v_cvt_f32_f16_e32 v21, v35
	v_cvt_f32_f16_e32 v26, v19
	v_cvt_f64_f32_e32 v[18:19], v20
	v_cvt_f32_f16_e32 v28, v39
	v_cvt_f32_f16_e32 v24, v37
	v_cvt_f64_f32_e32 v[20:21], v21
	v_cvt_f64_f32_e32 v[22:23], v22
	;; [unrolled: 1-line block ×3, first 2 shown]
	v_cvt_f32_f16_e32 v0, v0
	v_mul_f64 v[38:39], v[2:3], s[22:23]
	v_cvt_f64_f32_e32 v[24:25], v24
	v_cvt_f64_f32_e32 v[28:29], v28
	v_add_co_ci_u32_e32 v41, vcc_lo, s24, v17, vcc_lo
	v_mul_f64 v[12:13], v[12:13], s[22:23]
	v_cvt_f64_f32_e32 v[36:37], v0
	v_cvt_f32_f16_e32 v34, v42
	v_cvt_f64_f32_e32 v[30:31], v30
	v_add_co_u32 v42, vcc_lo, v40, s19
	v_mul_f64 v[14:15], v[14:15], s[22:23]
	v_add_co_ci_u32_e32 v43, vcc_lo, s24, v41, vcc_lo
	v_cvt_f64_f32_e32 v[34:35], v34
	v_mul_f64 v[18:19], v[18:19], s[22:23]
	v_mul_f64 v[20:21], v[20:21], s[22:23]
	v_mul_f64 v[22:23], v[22:23], s[22:23]
	v_mul_f64 v[26:27], v[26:27], s[22:23]
	v_and_or_b32 v0, 0x1ff, v39, v38
	v_mul_f64 v[24:25], v[24:25], s[22:23]
	v_mul_f64 v[28:29], v[28:29], s[22:23]
	v_lshrrev_b32_e32 v32, 8, v39
	v_and_or_b32 v12, 0x1ff, v13, v12
	v_cmp_ne_u32_e32 vcc_lo, 0, v0
	v_mul_f64 v[2:3], v[36:37], s[22:23]
	v_mul_f64 v[30:31], v[30:31], s[22:23]
	v_bfe_u32 v36, v39, 20, 11
	v_lshrrev_b32_e32 v38, 8, v13
	v_and_or_b32 v14, 0x1ff, v15, v14
	v_cndmask_b32_e64 v0, 0, 1, vcc_lo
	v_cmp_ne_u32_e32 vcc_lo, 0, v12
	v_mul_f64 v[34:35], v[34:35], s[22:23]
	v_and_or_b32 v18, 0x1ff, v19, v18
	v_lshrrev_b32_e32 v37, 16, v39
	v_and_or_b32 v0, 0xffe, v32, v0
	v_cndmask_b32_e64 v12, 0, 1, vcc_lo
	v_cmp_ne_u32_e32 vcc_lo, 0, v14
	v_and_or_b32 v20, 0x1ff, v21, v20
	v_and_or_b32 v22, 0x1ff, v23, v22
	;; [unrolled: 1-line block ×4, first 2 shown]
	v_cndmask_b32_e64 v14, 0, 1, vcc_lo
	v_cmp_ne_u32_e32 vcc_lo, 0, v18
	v_and_or_b32 v28, 0x1ff, v29, v28
	v_bfe_u32 v39, v13, 20, 11
	v_lshrrev_b32_e32 v44, 8, v15
	v_bfe_u32 v45, v15, 20, 11
	v_cndmask_b32_e64 v18, 0, 1, vcc_lo
	v_cmp_ne_u32_e32 vcc_lo, 0, v20
	v_and_or_b32 v30, 0x1ff, v31, v30
	v_sub_nc_u32_e32 v62, 0x3f1, v36
	v_add_nc_u32_e32 v36, 0xfffffc10, v36
	v_and_or_b32 v12, 0xffe, v38, v12
	v_cndmask_b32_e64 v20, 0, 1, vcc_lo
	v_cmp_ne_u32_e32 vcc_lo, 0, v22
	v_and_or_b32 v34, 0x1ff, v35, v34
	v_lshrrev_b32_e32 v60, 8, v35
	v_lshrrev_b32_e32 v46, 8, v19
	v_bfe_u32 v47, v19, 20, 11
	v_cndmask_b32_e64 v22, 0, 1, vcc_lo
	v_cmp_ne_u32_e32 vcc_lo, 0, v24
	v_bfe_u32 v49, v21, 20, 11
	v_sub_nc_u32_e32 v63, 0x3f1, v39
	v_add_nc_u32_e32 v39, 0xfffffc10, v39
	v_sub_nc_u32_e32 v64, 0x3f1, v45
	v_cndmask_b32_e64 v24, 0, 1, vcc_lo
	v_cmp_ne_u32_e32 vcc_lo, 0, v26
	v_med3_i32 v32, v62, 0, 13
	v_and_or_b32 v14, 0xffe, v44, v14
	v_lshl_or_b32 v62, v36, 12, v0
	v_lshrrev_b32_e32 v48, 8, v21
	v_cndmask_b32_e64 v26, 0, 1, vcc_lo
	v_cmp_ne_u32_e32 vcc_lo, 0, v28
	v_bfe_u32 v51, v23, 20, 11
	v_bfe_u32 v53, v25, 20, 11
	v_add_nc_u32_e32 v45, 0xfffffc10, v45
	v_sub_nc_u32_e32 v65, 0x3f1, v47
	v_cndmask_b32_e64 v28, 0, 1, vcc_lo
	v_cmp_ne_u32_e32 vcc_lo, 0, v30
	v_sub_nc_u32_e32 v66, 0x3f1, v49
	v_med3_i32 v38, v63, 0, 13
	v_med3_i32 v44, v64, 0, 13
	v_and_or_b32 v18, 0xffe, v46, v18
	v_cndmask_b32_e64 v30, 0, 1, vcc_lo
	v_cmp_ne_u32_e32 vcc_lo, 0, v34
	v_or_b32_e32 v63, 0x1000, v12
	v_lshl_or_b32 v64, v39, 12, v12
	v_lshrrev_b32_e32 v50, 8, v23
	v_lshrrev_b32_e32 v52, 8, v25
	v_cndmask_b32_e64 v34, 0, 1, vcc_lo
	v_cmp_ne_u32_e32 vcc_lo, 0, v0
	v_bfe_u32 v55, v27, 20, 11
	v_bfe_u32 v57, v29, 20, 11
	v_add_nc_u32_e32 v47, 0xfffffc10, v47
	v_and_or_b32 v34, 0xffe, v60, v34
	v_or_b32_e32 v60, 0x1000, v0
	v_cndmask_b32_e64 v0, 0, 1, vcc_lo
	v_cmp_ne_u32_e32 vcc_lo, 0, v12
	v_sub_nc_u32_e32 v67, 0x3f1, v51
	v_sub_nc_u32_e32 v68, 0x3f1, v53
	v_med3_i32 v46, v65, 0, 13
	v_and_or_b32 v20, 0xffe, v48, v20
	v_cndmask_b32_e64 v12, 0, 1, vcc_lo
	v_cmp_ne_u32_e32 vcc_lo, 0, v14
	v_med3_i32 v48, v66, 0, 13
	v_or_b32_e32 v65, 0x1000, v14
	v_lshl_or_b32 v66, v45, 12, v14
	v_lshrrev_b32_e32 v54, 8, v27
	v_cndmask_b32_e64 v14, 0, 1, vcc_lo
	v_cmp_ne_u32_e32 vcc_lo, 0, v18
	v_lshrrev_b32_e32 v56, 8, v29
	v_bfe_u32 v59, v31, 20, 11
	v_add_nc_u32_e32 v49, 0xfffffc10, v49
	v_sub_nc_u32_e32 v69, 0x3f1, v55
	v_sub_nc_u32_e32 v70, 0x3f1, v57
	v_and_or_b32 v22, 0xffe, v50, v22
	v_med3_i32 v50, v67, 0, 13
	v_and_or_b32 v24, 0xffe, v52, v24
	v_med3_i32 v52, v68, 0, 13
	v_or_b32_e32 v67, 0x1000, v18
	v_lshl_or_b32 v68, v47, 12, v18
	v_cndmask_b32_e64 v18, 0, 1, vcc_lo
	v_cmp_ne_u32_e32 vcc_lo, 0, v20
	v_lshrrev_b32_e32 v58, 8, v31
	v_add_nc_u32_e32 v51, 0xfffffc10, v51
	v_sub_nc_u32_e32 v71, 0x3f1, v59
	v_and_or_b32 v26, 0xffe, v54, v26
	v_med3_i32 v54, v69, 0, 13
	v_and_or_b32 v28, 0xffe, v56, v28
	v_med3_i32 v56, v70, 0, 13
	v_or_b32_e32 v69, 0x1000, v20
	v_lshl_or_b32 v70, v49, 12, v20
	v_cndmask_b32_e64 v20, 0, 1, vcc_lo
	v_cmp_ne_u32_e32 vcc_lo, 0, v22
	v_add_nc_u32_e32 v53, 0xfffffc10, v53
	v_and_or_b32 v30, 0xffe, v58, v30
	v_med3_i32 v58, v71, 0, 13
	v_or_b32_e32 v71, 0x1000, v22
	v_lshl_or_b32 v73, v51, 12, v22
	v_cndmask_b32_e64 v22, 0, 1, vcc_lo
	v_cmp_ne_u32_e32 vcc_lo, 0, v24
	v_add_nc_u32_e32 v55, 0xfffffc10, v55
	v_or_b32_e32 v74, 0x1000, v24
	v_lshl_or_b32 v75, v53, 12, v24
	v_lshrrev_b32_e32 v83, v32, v60
	v_cndmask_b32_e64 v24, 0, 1, vcc_lo
	v_cmp_ne_u32_e32 vcc_lo, 0, v26
	v_add_nc_u32_e32 v57, 0xfffffc10, v57
	v_or_b32_e32 v76, 0x1000, v26
	v_lshl_or_b32 v77, v55, 12, v26
	v_lshrrev_b32_e32 v84, v38, v63
	v_cndmask_b32_e64 v26, 0, 1, vcc_lo
	v_cmp_ne_u32_e32 vcc_lo, 0, v28
	v_lshlrev_b32_e32 v32, v32, v83
	v_or_b32_e32 v78, 0x1000, v28
	v_lshl_or_b32 v79, v57, 12, v28
	v_lshrrev_b32_e32 v85, v44, v65
	v_cndmask_b32_e64 v28, 0, 1, vcc_lo
	v_lshlrev_b32_e32 v38, v38, v84
	v_cmp_ne_u32_e32 vcc_lo, v32, v60
	v_lshrrev_b32_e32 v86, v46, v67
	v_lshlrev_b32_e32 v44, v44, v85
	v_lshrrev_b32_e32 v87, v48, v69
	v_lshrrev_b32_e32 v88, v50, v71
	v_cndmask_b32_e64 v32, 0, 1, vcc_lo
	v_cmp_ne_u32_e32 vcc_lo, v38, v63
	v_lshlrev_b32_e32 v46, v46, v86
	v_lshlrev_b32_e32 v48, v48, v87
	v_lshrrev_b32_e32 v89, v52, v74
	v_lshlrev_b32_e32 v50, v50, v88
	v_cndmask_b32_e64 v38, 0, 1, vcc_lo
	v_cmp_ne_u32_e32 vcc_lo, v44, v65
	v_lshrrev_b32_e32 v90, v54, v76
	v_lshlrev_b32_e32 v52, v52, v89
	v_or_b32_e32 v80, 0x1000, v30
	v_lshrrev_b32_e32 v91, v56, v78
	v_cndmask_b32_e64 v44, 0, 1, vcc_lo
	v_cmp_ne_u32_e32 vcc_lo, v46, v67
	v_lshlrev_b32_e32 v54, v54, v90
	v_lshrrev_b32_e32 v92, v58, v80
	v_lshlrev_b32_e32 v56, v56, v91
	v_or_b32_e32 v32, v83, v32
	v_cndmask_b32_e64 v46, 0, 1, vcc_lo
	v_cmp_ne_u32_e32 vcc_lo, v48, v69
	v_lshlrev_b32_e32 v58, v58, v92
	v_or_b32_e32 v38, v84, v38
	v_or_b32_e32 v44, v85, v44
	;; [unrolled: 1-line block ×3, first 2 shown]
	v_cndmask_b32_e64 v48, 0, 1, vcc_lo
	v_cmp_ne_u32_e32 vcc_lo, v50, v71
	v_add_nc_u32_e32 v59, 0xfffffc10, v59
	v_lshl_or_b32 v0, v0, 9, 0x7c00
	v_lshl_or_b32 v12, v12, 9, 0x7c00
	v_or_b32_e32 v48, v87, v48
	v_cndmask_b32_e64 v50, 0, 1, vcc_lo
	v_cmp_ne_u32_e32 vcc_lo, v52, v74
	v_lshl_or_b32 v81, v59, 12, v30
	v_lshl_or_b32 v14, v14, 9, 0x7c00
	;; [unrolled: 1-line block ×3, first 2 shown]
	v_or_b32_e32 v50, v88, v50
	v_cndmask_b32_e64 v52, 0, 1, vcc_lo
	v_cmp_ne_u32_e32 vcc_lo, v54, v76
	v_lshl_or_b32 v20, v20, 9, 0x7c00
	v_lshl_or_b32 v22, v22, 9, 0x7c00
	v_lshrrev_b32_e32 v13, 16, v13
	v_or_b32_e32 v52, v89, v52
	v_cndmask_b32_e64 v54, 0, 1, vcc_lo
	v_cmp_ne_u32_e32 vcc_lo, v56, v78
	v_lshrrev_b32_e32 v15, 16, v15
	v_lshrrev_b32_e32 v21, 16, v21
	v_lshl_or_b32 v24, v24, 9, 0x7c00
	v_or_b32_e32 v54, v90, v54
	v_cndmask_b32_e64 v56, 0, 1, vcc_lo
	v_cmp_ne_u32_e32 vcc_lo, v58, v80
	v_lshrrev_b32_e32 v19, 16, v19
	v_lshrrev_b32_e32 v23, 16, v23
	v_lshl_or_b32 v26, v26, 9, 0x7c00
	v_or_b32_e32 v56, v91, v56
	v_cndmask_b32_e64 v58, 0, 1, vcc_lo
	v_cmp_gt_i32_e32 vcc_lo, 1, v36
	v_bfe_u32 v61, v35, 20, 11
	v_lshl_or_b32 v28, v28, 9, 0x7c00
	v_or_b32_e32 v82, 0x1000, v34
	v_or_b32_e32 v58, v92, v58
	v_cndmask_b32_e32 v32, v62, v32, vcc_lo
	v_cmp_gt_i32_e32 vcc_lo, 1, v39
	v_sub_nc_u32_e32 v72, 0x3f1, v61
	v_lshrrev_b32_e32 v25, 16, v25
	v_and_or_b32 v2, 0x1ff, v3, v2
	v_and_b32_e32 v60, 7, v32
	v_cndmask_b32_e32 v38, v64, v38, vcc_lo
	v_cmp_gt_i32_e32 vcc_lo, 1, v45
	v_lshrrev_b32_e32 v32, 2, v32
	v_lshrrev_b32_e32 v27, 16, v27
	v_cmp_eq_u32_e64 s0, 3, v60
	v_and_b32_e32 v62, 7, v38
	v_cndmask_b32_e32 v44, v66, v44, vcc_lo
	v_cmp_gt_i32_e32 vcc_lo, 1, v47
	v_lshrrev_b32_e32 v38, 2, v38
	v_cmp_lt_i32_e64 s1, 5, v62
	v_and_b32_e32 v63, 7, v44
	v_cndmask_b32_e32 v46, v68, v46, vcc_lo
	v_cmp_gt_i32_e32 vcc_lo, 1, v49
	v_cmp_eq_u32_e64 s2, 3, v62
	v_lshrrev_b32_e32 v44, 2, v44
	v_cmp_lt_i32_e64 s3, 5, v63
	v_and_b32_e32 v64, 7, v46
	v_cndmask_b32_e32 v48, v70, v48, vcc_lo
	v_cmp_gt_i32_e32 vcc_lo, 1, v51
	v_cmp_eq_u32_e64 s4, 3, v63
	;; [unrolled: 6-line block ×6, first 2 shown]
	v_lshrrev_b32_e32 v54, 2, v54
	v_cmp_lt_i32_e64 s13, 5, v68
	v_and_b32_e32 v69, 7, v56
	v_cndmask_b32_e32 v58, v81, v58, vcc_lo
	v_cmp_lt_i32_e32 vcc_lo, 5, v60
	v_cmp_eq_u32_e64 s14, 3, v68
	v_lshrrev_b32_e32 v56, 2, v56
	v_cmp_lt_i32_e64 s15, 5, v69
	v_cmp_eq_u32_e64 s16, 3, v69
	s_or_b32 vcc_lo, s0, vcc_lo
	v_and_b32_e32 v70, 7, v58
	v_add_co_ci_u32_e32 v32, vcc_lo, 0, v32, vcc_lo
	s_or_b32 vcc_lo, s2, s1
	v_lshrrev_b32_e32 v58, 2, v58
	v_add_co_ci_u32_e32 v38, vcc_lo, 0, v38, vcc_lo
	s_or_b32 vcc_lo, s4, s3
	v_cmp_lt_i32_e64 s17, 5, v70
	v_add_co_ci_u32_e32 v44, vcc_lo, 0, v44, vcc_lo
	s_or_b32 vcc_lo, s6, s5
	v_cmp_eq_u32_e64 s18, 3, v70
	v_add_co_ci_u32_e32 v46, vcc_lo, 0, v46, vcc_lo
	s_or_b32 vcc_lo, s8, s7
	v_add_co_ci_u32_e32 v48, vcc_lo, 0, v48, vcc_lo
	s_or_b32 vcc_lo, s10, s9
	;; [unrolled: 2-line block ×5, first 2 shown]
	v_add_co_ci_u32_e32 v56, vcc_lo, 0, v56, vcc_lo
	v_cmp_gt_i32_e32 vcc_lo, 31, v36
	v_cndmask_b32_e32 v32, 0x7c00, v32, vcc_lo
	v_cmp_gt_i32_e32 vcc_lo, 31, v39
	v_cndmask_b32_e32 v38, 0x7c00, v38, vcc_lo
	;; [unrolled: 2-line block ×9, first 2 shown]
	v_cmp_eq_u32_e32 vcc_lo, 0x40f, v36
	v_cndmask_b32_e32 v0, v32, v0, vcc_lo
	v_cmp_eq_u32_e32 vcc_lo, 0x40f, v39
	v_and_or_b32 v0, 0x8000, v37, v0
	v_cndmask_b32_e32 v12, v38, v12, vcc_lo
	v_cmp_eq_u32_e32 vcc_lo, 0x40f, v45
	v_and_b32_e32 v0, 0xffff, v0
	v_and_or_b32 v12, 0x8000, v13, v12
	v_cndmask_b32_e32 v14, v44, v14, vcc_lo
	v_cmp_eq_u32_e32 vcc_lo, 0x40f, v47
	v_lshl_or_b32 v0, v12, 16, v0
	v_and_or_b32 v13, 0x8000, v15, v14
	v_cndmask_b32_e32 v18, v46, v18, vcc_lo
	v_cmp_eq_u32_e32 vcc_lo, 0x40f, v49
	v_and_b32_e32 v13, 0xffff, v13
	v_and_or_b32 v14, 0x8000, v19, v18
	v_cndmask_b32_e32 v20, v48, v20, vcc_lo
	v_cmp_eq_u32_e32 vcc_lo, 0x40f, v51
	v_lshl_or_b32 v12, v14, 16, v13
	v_and_or_b32 v15, 0x8000, v21, v20
	v_cndmask_b32_e32 v22, v50, v22, vcc_lo
	v_cmp_eq_u32_e32 vcc_lo, 0x40f, v53
	v_add_nc_u32_e32 v21, 0xfffffc10, v61
	v_and_b32_e32 v15, 0xffff, v15
	v_and_or_b32 v18, 0x8000, v23, v22
	v_cndmask_b32_e32 v24, v52, v24, vcc_lo
	v_cmp_eq_u32_e32 vcc_lo, 0x40f, v55
	v_lshl_or_b32 v13, v18, 16, v15
	global_store_dword v[16:17], v0, off
	global_store_dword v[40:41], v12, off
	;; [unrolled: 1-line block ×3, first 2 shown]
	v_cndmask_b32_e32 v26, v54, v26, vcc_lo
	v_cmp_eq_u32_e32 vcc_lo, 0x40f, v57
	v_med3_i32 v0, v72, 0, 13
	v_lshrrev_b32_e32 v16, 16, v29
	v_and_or_b32 v19, 0x8000, v25, v24
	v_and_or_b32 v20, 0x8000, v27, v26
	v_cndmask_b32_e32 v14, v56, v28, vcc_lo
	s_or_b32 vcc_lo, s18, s17
	v_lshrrev_b32_e32 v15, v0, v82
	v_add_co_ci_u32_e32 v12, vcc_lo, 0, v58, vcc_lo
	v_cmp_ne_u32_e32 vcc_lo, 0, v30
	v_and_or_b32 v14, 0x8000, v16, v14
	v_lshlrev_b32_e32 v0, v0, v15
	v_lshrrev_b32_e32 v16, 16, v1
	v_and_b32_e32 v19, 0xffff, v19
	v_cndmask_b32_e64 v13, 0, 1, vcc_lo
	v_cmp_gt_i32_e32 vcc_lo, 31, v59
	v_lshrrev_b32_e32 v18, 16, v31
	global_load_dword v22, v33, s[20:21] offset:1800
	v_lshl_or_b32 v20, v20, 16, v19
	v_lshl_or_b32 v13, v13, 9, 0x7c00
	v_cndmask_b32_e32 v12, 0x7c00, v12, vcc_lo
	v_cmp_eq_u32_e32 vcc_lo, 0x40f, v59
	v_bfe_u32 v19, v3, 20, 11
	v_cndmask_b32_e32 v17, v12, v13, vcc_lo
	v_cmp_ne_u32_e32 vcc_lo, v0, v82
	s_waitcnt vmcnt(4)
	v_mul_f16_sdwa v12, v16, v11 dst_sel:DWORD dst_unused:UNUSED_PAD src0_sel:DWORD src1_sel:WORD_1
	v_lshl_or_b32 v13, v21, 12, v34
	v_and_or_b32 v17, 0x8000, v18, v17
	v_cndmask_b32_e64 v0, 0, 1, vcc_lo
	v_fmac_f16_e32 v12, v1, v11
	v_cmp_ne_u32_e32 vcc_lo, 0, v2
	v_and_b32_e32 v18, 0xffff, v14
	v_mul_f16_sdwa v1, v1, v11 dst_sel:DWORD dst_unused:UNUSED_PAD src0_sel:DWORD src1_sel:WORD_1
	v_or_b32_e32 v0, v15, v0
	v_cvt_f32_f16_e32 v12, v12
	v_cndmask_b32_e64 v2, 0, 1, vcc_lo
	v_cmp_gt_i32_e32 vcc_lo, 1, v21
	v_lshrrev_b32_e32 v15, 8, v3
	v_fma_f16 v11, v11, v16, -v1
	v_cndmask_b32_e32 v0, v13, v0, vcc_lo
	v_cvt_f64_f32_e32 v[12:13], v12
	v_and_or_b32 v2, 0xffe, v15, v2
	v_sub_nc_u32_e32 v15, 0x3f1, v19
	v_add_co_u32 v14, vcc_lo, v42, s19
	v_and_b32_e32 v23, 7, v0
	v_or_b32_e32 v24, 0x1000, v2
	v_med3_i32 v25, v15, 0, 13
	v_add_co_ci_u32_e32 v15, vcc_lo, s24, v43, vcc_lo
	v_cmp_lt_i32_e32 vcc_lo, 5, v23
	v_cmp_eq_u32_e64 s0, 3, v23
	v_lshrrev_b32_e32 v26, v25, v24
	v_lshrrev_b32_e32 v0, 2, v0
	v_lshl_or_b32 v23, v17, 16, v18
	v_cvt_f32_f16_e32 v11, v11
	s_or_b32 vcc_lo, s0, vcc_lo
	v_lshlrev_b32_e32 v17, v25, v26
	v_add_co_ci_u32_e32 v18, vcc_lo, 0, v0, vcc_lo
	v_cmp_ne_u32_e32 vcc_lo, v17, v24
	v_mul_f64 v[0:1], v[12:13], s[22:23]
	v_add_nc_u32_e32 v13, 0xfffffc10, v19
	v_cndmask_b32_e64 v12, 0, 1, vcc_lo
	v_cmp_ne_u32_e32 vcc_lo, 0, v34
	v_lshl_or_b32 v24, v13, 12, v2
	v_or_b32_e32 v19, v26, v12
	v_cndmask_b32_e64 v16, 0, 1, vcc_lo
	v_cmp_gt_i32_e32 vcc_lo, 31, v21
	v_cvt_f64_f32_e32 v[11:12], v11
	v_lshl_or_b32 v26, v16, 9, 0x7c00
	v_cndmask_b32_e32 v25, 0x7c00, v18, vcc_lo
	v_cmp_gt_i32_e32 vcc_lo, 1, v13
	ds_read2_b32 v[16:17], v5 offset0:59 offset1:104
	v_cndmask_b32_e32 v24, v24, v19, vcc_lo
	v_add_co_u32 v18, vcc_lo, v14, s19
	v_and_or_b32 v0, 0x1ff, v1, v0
	v_add_co_ci_u32_e32 v19, vcc_lo, s24, v15, vcc_lo
	v_and_b32_e32 v27, 7, v24
	v_cmp_eq_u32_e32 vcc_lo, 0x40f, v21
	v_cmp_ne_u32_e64 s1, 0, v0
	v_lshrrev_b32_e32 v24, 2, v24
	v_cmp_eq_u32_e64 s0, 3, v27
	v_cndmask_b32_e32 v21, v25, v26, vcc_lo
	v_cmp_lt_i32_e32 vcc_lo, 5, v27
	v_cndmask_b32_e64 v0, 0, 1, s1
	v_lshrrev_b32_e32 v26, 8, v1
	v_bfe_u32 v27, v1, 20, 11
	v_mul_f64 v[11:12], v[11:12], s[22:23]
	s_or_b32 vcc_lo, s0, vcc_lo
	s_waitcnt lgkmcnt(0)
	v_lshrrev_b32_e32 v28, 16, v16
	v_add_co_ci_u32_e32 v24, vcc_lo, 0, v24, vcc_lo
	v_and_or_b32 v0, 0xffe, v26, v0
	v_sub_nc_u32_e32 v26, 0x3f1, v27
	v_cmp_ne_u32_e32 vcc_lo, 0, v2
	s_waitcnt vmcnt(3)
	v_mul_f16_sdwa v29, v28, v8 dst_sel:DWORD dst_unused:UNUSED_PAD src0_sel:DWORD src1_sel:WORD_1
	v_lshrrev_b32_e32 v25, 16, v35
	v_or_b32_e32 v30, 0x1000, v0
	v_med3_i32 v26, v26, 0, 13
	v_cndmask_b32_e64 v2, 0, 1, vcc_lo
	v_cmp_gt_i32_e32 vcc_lo, 31, v13
	v_fmac_f16_e32 v29, v16, v8
	v_and_or_b32 v21, 0x8000, v25, v21
	v_lshrrev_b32_e32 v31, v26, v30
	v_lshl_or_b32 v2, v2, 9, 0x7c00
	v_cndmask_b32_e32 v24, 0x7c00, v24, vcc_lo
	v_cmp_eq_u32_e32 vcc_lo, 0x40f, v13
	v_cvt_f32_f16_e32 v25, v29
	v_add_nc_u32_e32 v27, 0xfffffc10, v27
	v_and_or_b32 v11, 0x1ff, v12, v11
	v_lshrrev_b32_e32 v29, 8, v12
	v_cndmask_b32_e32 v13, v24, v2, vcc_lo
	v_lshlrev_b32_e32 v24, v26, v31
	v_lshrrev_b32_e32 v26, 16, v3
	v_cvt_f64_f32_e32 v[2:3], v25
	global_load_dword v25, v33, s[20:21] offset:1980
	v_and_b32_e32 v21, 0xffff, v21
	v_cmp_ne_u32_e32 vcc_lo, v24, v30
	v_bfe_u32 v30, v12, 20, 11
	v_and_or_b32 v13, 0x8000, v26, v13
	v_lshl_or_b32 v26, v27, 12, v0
	global_store_dword v[14:15], v20, off
	global_store_dword v[18:19], v23, off
	v_cndmask_b32_e64 v24, 0, 1, vcc_lo
	v_cmp_ne_u32_e32 vcc_lo, 0, v11
	v_lshl_or_b32 v20, v13, 16, v21
	v_mul_f16_sdwa v16, v16, v8 dst_sel:DWORD dst_unused:UNUSED_PAD src0_sel:DWORD src1_sel:WORD_1
	v_add_nc_u32_e32 v23, 0xfffffc10, v30
	v_or_b32_e32 v24, v31, v24
	v_cndmask_b32_e64 v11, 0, 1, vcc_lo
	v_cmp_gt_i32_e32 vcc_lo, 1, v27
	v_fma_f16 v8, v8, v28, -v16
	v_lshrrev_b32_e32 v1, 16, v1
	v_and_or_b32 v11, 0xffe, v29, v11
	v_sub_nc_u32_e32 v29, 0x3f1, v30
	v_cndmask_b32_e32 v24, v26, v24, vcc_lo
	v_mul_f64 v[2:3], v[2:3], s[22:23]
	v_add_co_u32 v13, vcc_lo, v18, s19
	v_or_b32_e32 v26, 0x1000, v11
	v_med3_i32 v29, v29, 0, 13
	v_and_b32_e32 v15, 7, v24
	v_add_co_ci_u32_e32 v14, vcc_lo, s24, v19, vcc_lo
	v_cvt_f32_f16_e32 v8, v8
	v_lshrrev_b32_e32 v21, v29, v26
	v_cmp_lt_i32_e32 vcc_lo, 5, v15
	v_cmp_eq_u32_e64 s0, 3, v15
	v_lshrrev_b32_e32 v15, 2, v24
	global_store_dword v[13:14], v20, off
	v_lshlrev_b32_e32 v18, v29, v21
	s_or_b32 vcc_lo, s0, vcc_lo
	v_add_co_ci_u32_e32 v19, vcc_lo, 0, v15, vcc_lo
	v_cmp_ne_u32_e64 s1, v18, v26
	v_cmp_ne_u32_e32 vcc_lo, 0, v0
	v_cvt_f64_f32_e32 v[15:16], v8
	v_and_or_b32 v2, 0x1ff, v3, v2
	v_bfe_u32 v24, v3, 20, 11
	v_cndmask_b32_e64 v18, 0, 1, s1
	v_cndmask_b32_e64 v0, 0, 1, vcc_lo
	v_cmp_gt_i32_e32 vcc_lo, 1, v23
	v_lshrrev_b32_e32 v26, 16, v17
	v_or_b32_e32 v18, v21, v18
	v_lshl_or_b32 v21, v23, 12, v11
	v_lshl_or_b32 v0, v0, 9, 0x7c00
	v_cndmask_b32_e32 v8, v21, v18, vcc_lo
	v_cmp_gt_i32_e32 vcc_lo, 31, v27
	v_lshrrev_b32_e32 v21, 8, v3
	v_cndmask_b32_e32 v18, 0x7c00, v19, vcc_lo
	v_cmp_ne_u32_e32 vcc_lo, 0, v2
	v_and_b32_e32 v19, 7, v8
	v_mul_f64 v[15:16], v[15:16], s[22:23]
	v_lshrrev_b32_e32 v8, 2, v8
	v_cndmask_b32_e64 v2, 0, 1, vcc_lo
	v_cmp_eq_u32_e32 vcc_lo, 0x40f, v27
	v_cmp_eq_u32_e64 s0, 3, v19
	v_and_or_b32 v2, 0xffe, v21, v2
	v_cndmask_b32_e32 v0, v18, v0, vcc_lo
	v_cmp_lt_i32_e32 vcc_lo, 5, v19
	v_sub_nc_u32_e32 v18, 0x3f1, v24
	s_waitcnt vmcnt(3)
	v_mul_f16_sdwa v19, v26, v9 dst_sel:DWORD dst_unused:UNUSED_PAD src0_sel:DWORD src1_sel:WORD_1
	v_or_b32_e32 v21, 0x1000, v2
	v_and_or_b32 v0, 0x8000, v1, v0
	s_or_b32 vcc_lo, s0, vcc_lo
	v_med3_i32 v18, v18, 0, 13
	v_add_co_ci_u32_e32 v8, vcc_lo, 0, v8, vcc_lo
	v_cmp_ne_u32_e32 vcc_lo, 0, v11
	v_fmac_f16_e32 v19, v17, v9
	v_lshrrev_b32_e32 v27, v18, v21
	v_and_or_b32 v15, 0x1ff, v16, v15
	v_cndmask_b32_e64 v11, 0, 1, vcc_lo
	v_cmp_gt_i32_e32 vcc_lo, 31, v23
	v_cvt_f32_f16_e32 v19, v19
	v_lshlrev_b32_e32 v28, v18, v27
	v_lshl_or_b32 v11, v11, 9, 0x7c00
	v_cndmask_b32_e32 v8, 0x7c00, v8, vcc_lo
	v_cmp_eq_u32_e32 vcc_lo, 0x40f, v23
	v_cvt_f64_f32_e32 v[18:19], v19
	v_bfe_u32 v23, v16, 20, 11
	v_cndmask_b32_e32 v8, v8, v11, vcc_lo
	v_cmp_ne_u32_e32 vcc_lo, v28, v21
	v_lshrrev_b32_e32 v11, 16, v12
	v_add_nc_u32_e32 v21, 0xfffffc10, v24
	v_and_b32_e32 v24, 0xffff, v0
	v_cndmask_b32_e64 v12, 0, 1, vcc_lo
	v_cmp_ne_u32_e32 vcc_lo, 0, v15
	v_and_or_b32 v8, 0x8000, v11, v8
	v_lshl_or_b32 v11, v21, 12, v2
	v_lshrrev_b32_e32 v15, 8, v16
	v_or_b32_e32 v1, v27, v12
	v_cndmask_b32_e64 v12, 0, 1, vcc_lo
	v_cmp_gt_i32_e32 vcc_lo, 1, v21
	v_lshl_or_b32 v24, v8, 16, v24
	v_and_or_b32 v15, 0xffe, v15, v12
	v_cndmask_b32_e32 v11, v11, v1, vcc_lo
	v_sub_nc_u32_e32 v12, 0x3f1, v23
	v_mul_f64 v[0:1], v[18:19], s[22:23]
	v_or_b32_e32 v19, 0x1000, v15
	v_and_b32_e32 v18, 7, v11
	v_med3_i32 v20, v12, 0, 13
	v_lshrrev_b32_e32 v8, 2, v11
	v_add_co_u32 v11, s1, v13, s19
	v_cmp_lt_i32_e32 vcc_lo, 5, v18
	v_cmp_eq_u32_e64 s0, 3, v18
	v_lshrrev_b32_e32 v18, v20, v19
	v_add_co_ci_u32_e64 v12, s1, s24, v14, s1
	s_or_b32 vcc_lo, s0, vcc_lo
	v_lshlrev_b32_e32 v13, v20, v18
	v_add_co_ci_u32_e32 v20, vcc_lo, 0, v8, vcc_lo
	v_mul_f16_sdwa v8, v17, v9 dst_sel:DWORD dst_unused:UNUSED_PAD src0_sel:DWORD src1_sel:WORD_1
	v_add_nc_u32_e32 v17, 0xfffffc10, v23
	v_cmp_ne_u32_e32 vcc_lo, v13, v19
	global_store_dword v[11:12], v24, off
	v_and_or_b32 v0, 0x1ff, v1, v0
	v_fma_f16 v14, v9, v26, -v8
	ds_read2_b32 v[8:9], v5 offset0:149 offset1:194
	v_cndmask_b32_e64 v13, 0, 1, vcc_lo
	v_cmp_ne_u32_e32 vcc_lo, 0, v2
	v_lshrrev_b32_e32 v19, 8, v1
	v_bfe_u32 v23, v1, 20, 11
	v_lshrrev_b32_e32 v1, 16, v1
	v_or_b32_e32 v5, v18, v13
	v_cndmask_b32_e64 v2, 0, 1, vcc_lo
	v_cvt_f32_f16_e32 v13, v14
	v_cmp_ne_u32_e32 vcc_lo, 0, v0
	v_lshl_or_b32 v18, v17, 12, v15
	v_lshl_or_b32 v2, v2, 9, 0x7c00
	v_cvt_f64_f32_e32 v[13:14], v13
	v_cndmask_b32_e64 v0, 0, 1, vcc_lo
	v_cmp_gt_i32_e32 vcc_lo, 1, v17
	v_and_or_b32 v0, 0xffe, v19, v0
	v_cndmask_b32_e32 v5, v18, v5, vcc_lo
	v_cmp_gt_i32_e32 vcc_lo, 31, v21
	v_sub_nc_u32_e32 v18, 0x3f1, v23
	s_waitcnt lgkmcnt(0)
	v_lshrrev_b32_e32 v27, 16, v8
	v_or_b32_e32 v26, 0x1000, v0
	v_cndmask_b32_e32 v19, 0x7c00, v20, vcc_lo
	v_and_b32_e32 v20, 7, v5
	v_cmp_eq_u32_e32 vcc_lo, 0x40f, v21
	v_med3_i32 v18, v18, 0, 13
	v_lshrrev_b32_e32 v5, 2, v5
	s_waitcnt vmcnt(2)
	v_mul_f16_sdwa v29, v27, v10 dst_sel:DWORD dst_unused:UNUSED_PAD src0_sel:DWORD src1_sel:WORD_1
	v_cmp_eq_u32_e64 s0, 3, v20
	v_cndmask_b32_e32 v19, v19, v2, vcc_lo
	v_cmp_lt_i32_e32 vcc_lo, 5, v20
	v_lshrrev_b32_e32 v28, v18, v26
	v_lshrrev_b32_e32 v21, 16, v3
	v_mul_f64 v[2:3], v[13:14], s[22:23]
	v_fmac_f16_e32 v29, v8, v10
	s_or_b32 vcc_lo, s0, vcc_lo
	v_lshlrev_b32_e32 v18, v18, v28
	v_add_co_ci_u32_e32 v5, vcc_lo, 0, v5, vcc_lo
	v_cmp_ne_u32_e32 vcc_lo, 0, v15
	v_cvt_f32_f16_e32 v13, v29
	v_add_nc_u32_e32 v20, 0xfffffc10, v23
	v_and_or_b32 v19, 0x8000, v21, v19
	v_mul_f16_sdwa v8, v8, v10 dst_sel:DWORD dst_unused:UNUSED_PAD src0_sel:DWORD src1_sel:WORD_1
	v_cndmask_b32_e64 v15, 0, 1, vcc_lo
	v_cmp_ne_u32_e32 vcc_lo, v18, v26
	v_cvt_f64_f32_e32 v[13:14], v13
	v_lshl_or_b32 v21, v20, 12, v0
	v_fma_f16 v8, v10, v27, -v8
	v_lshl_or_b32 v15, v15, 9, 0x7c00
	v_cndmask_b32_e64 v18, 0, 1, vcc_lo
	v_cmp_gt_i32_e32 vcc_lo, 31, v17
	v_cvt_f32_f16_e32 v8, v8
	v_or_b32_e32 v18, v28, v18
	v_cndmask_b32_e32 v5, 0x7c00, v5, vcc_lo
	v_cmp_eq_u32_e32 vcc_lo, 0x40f, v17
	v_and_or_b32 v2, 0x1ff, v3, v2
	v_cndmask_b32_e32 v5, v5, v15, vcc_lo
	v_cmp_gt_i32_e32 vcc_lo, 1, v20
	v_lshrrev_b32_e32 v15, 16, v16
	v_cndmask_b32_e32 v16, v21, v18, vcc_lo
	v_cmp_ne_u32_e32 vcc_lo, 0, v2
	v_and_or_b32 v5, 0x8000, v15, v5
	v_and_b32_e32 v15, 0xffff, v19
	v_lshrrev_b32_e32 v18, 8, v3
	v_and_b32_e32 v17, 7, v16
	v_cndmask_b32_e64 v2, 0, 1, vcc_lo
	v_bfe_u32 v19, v3, 20, 11
	v_mul_f64 v[13:14], v[13:14], s[22:23]
	v_lshl_or_b32 v5, v5, 16, v15
	v_cmp_lt_i32_e32 vcc_lo, 5, v17
	v_cmp_eq_u32_e64 s0, 3, v17
	v_and_or_b32 v2, 0xffe, v18, v2
	v_sub_nc_u32_e32 v15, 0x3f1, v19
	v_lshrrev_b32_e32 v16, 2, v16
	v_add_nc_u32_e32 v19, 0xfffffc10, v19
	s_or_b32 vcc_lo, s0, vcc_lo
	v_or_b32_e32 v17, 0x1000, v2
	v_med3_i32 v15, v15, 0, 13
	v_add_co_ci_u32_e32 v16, vcc_lo, 0, v16, vcc_lo
	v_add_co_u32 v10, vcc_lo, v11, s19
	v_add_co_ci_u32_e32 v11, vcc_lo, s24, v12, vcc_lo
	v_lshrrev_b32_e32 v18, v15, v17
	v_cmp_gt_i32_e32 vcc_lo, 31, v20
	v_lshrrev_b32_e32 v3, 16, v3
	global_store_dword v[10:11], v5, off
	v_lshlrev_b32_e32 v21, v15, v18
	v_cndmask_b32_e32 v12, 0x7c00, v16, vcc_lo
	v_cmp_ne_u32_e32 vcc_lo, 0, v0
	v_cvt_f64_f32_e32 v[15:16], v8
	v_and_or_b32 v8, 0x1ff, v14, v13
	v_cndmask_b32_e64 v0, 0, 1, vcc_lo
	v_cmp_ne_u32_e32 vcc_lo, v21, v17
	v_lshrrev_b32_e32 v17, 8, v14
	v_bfe_u32 v21, v14, 20, 11
	v_lshrrev_b32_e32 v14, 16, v14
	v_lshl_or_b32 v0, v0, 9, 0x7c00
	v_cndmask_b32_e64 v13, 0, 1, vcc_lo
	v_cmp_ne_u32_e32 vcc_lo, 0, v8
	v_or_b32_e32 v13, v18, v13
	v_cndmask_b32_e64 v8, 0, 1, vcc_lo
	v_cmp_eq_u32_e32 vcc_lo, 0x40f, v20
	v_lshl_or_b32 v18, v19, 12, v2
	v_and_or_b32 v8, 0xffe, v17, v8
	v_sub_nc_u32_e32 v17, 0x3f1, v21
	v_cndmask_b32_e32 v0, v12, v0, vcc_lo
	v_cmp_gt_i32_e32 vcc_lo, 1, v19
	v_or_b32_e32 v20, 0x1000, v8
	v_med3_i32 v17, v17, 0, 13
	v_and_or_b32 v24, 0x8000, v1, v0
	v_cndmask_b32_e32 v18, v18, v13, vcc_lo
	v_mul_f64 v[12:13], v[15:16], s[22:23]
	v_lshrrev_b32_e32 v15, 16, v9
	v_lshrrev_b32_e32 v16, v17, v20
	v_and_b32_e32 v23, 7, v18
	v_lshrrev_b32_e32 v1, 2, v18
	s_waitcnt vmcnt(1)
	v_mul_f16_sdwa v5, v15, v22 dst_sel:DWORD dst_unused:UNUSED_PAD src0_sel:DWORD src1_sel:WORD_1
	v_lshlrev_b32_e32 v0, v17, v16
	v_add_nc_u32_e32 v17, 0xfffffc10, v21
	v_cmp_lt_i32_e32 vcc_lo, 5, v23
	v_cmp_eq_u32_e64 s0, 3, v23
	v_fmac_f16_e32 v5, v9, v22
	v_cmp_ne_u32_e64 s1, v0, v20
	v_mul_f16_sdwa v9, v9, v22 dst_sel:DWORD dst_unused:UNUSED_PAD src0_sel:DWORD src1_sel:WORD_1
	s_or_b32 vcc_lo, s0, vcc_lo
	v_cvt_f32_f16_e32 v5, v5
	v_add_co_ci_u32_e32 v18, vcc_lo, 0, v1, vcc_lo
	v_cndmask_b32_e64 v0, 0, 1, s1
	v_cmp_ne_u32_e32 vcc_lo, 0, v2
	v_and_or_b32 v12, 0x1ff, v13, v12
	v_bfe_u32 v20, v13, 20, 11
	v_or_b32_e32 v16, v16, v0
	v_cvt_f64_f32_e32 v[0:1], v5
	v_lshl_or_b32 v5, v17, 12, v8
	v_cndmask_b32_e64 v2, 0, 1, vcc_lo
	v_cmp_gt_i32_e32 vcc_lo, 1, v17
	v_lshl_or_b32 v2, v2, 9, 0x7c00
	v_cndmask_b32_e32 v5, v5, v16, vcc_lo
	v_cmp_ne_u32_e32 vcc_lo, 0, v12
	v_lshrrev_b32_e32 v16, 8, v13
	v_and_b32_e32 v21, 7, v5
	v_cndmask_b32_e64 v12, 0, 1, vcc_lo
	v_cmp_gt_i32_e32 vcc_lo, 31, v19
	v_cmp_eq_u32_e64 s0, 3, v21
	v_and_or_b32 v12, 0xffe, v16, v12
	v_cndmask_b32_e32 v18, 0x7c00, v18, vcc_lo
	v_cmp_eq_u32_e32 vcc_lo, 0x40f, v19
	v_sub_nc_u32_e32 v16, 0x3f1, v20
	v_mul_f64 v[0:1], v[0:1], s[22:23]
	v_cndmask_b32_e32 v2, v18, v2, vcc_lo
	v_cmp_lt_i32_e32 vcc_lo, 5, v21
	v_or_b32_e32 v18, 0x1000, v12
	v_med3_i32 v16, v16, 0, 13
	v_and_or_b32 v2, 0x8000, v3, v2
	v_lshrrev_b32_e32 v3, 2, v5
	s_or_b32 vcc_lo, s0, vcc_lo
	v_and_b32_e32 v5, 0xffff, v24
	v_lshrrev_b32_e32 v19, v16, v18
	v_add_co_ci_u32_e32 v3, vcc_lo, 0, v3, vcc_lo
	v_cmp_ne_u32_e32 vcc_lo, 0, v8
	v_lshl_or_b32 v21, v2, 16, v5
	v_lshlrev_b32_e32 v5, v16, v19
	v_cndmask_b32_e64 v8, 0, 1, vcc_lo
	v_cmp_gt_i32_e32 vcc_lo, 31, v17
	v_and_or_b32 v0, 0x1ff, v1, v0
	v_lshl_or_b32 v8, v8, 9, 0x7c00
	v_cndmask_b32_e32 v16, 0x7c00, v3, vcc_lo
	v_cmp_ne_u32_e32 vcc_lo, v5, v18
	ds_read2_b32 v[2:3], v4 offset0:111 offset1:156
	v_fma_f16 v5, v22, v15, -v9
	v_add_nc_u32_e32 v18, 0xfffffc10, v20
	v_cndmask_b32_e64 v4, 0, 1, vcc_lo
	v_cmp_eq_u32_e32 vcc_lo, 0x40f, v17
	v_bfe_u32 v17, v1, 20, 11
	v_lshl_or_b32 v9, v18, 12, v12
	v_cndmask_b32_e32 v15, v16, v8, vcc_lo
	v_cmp_ne_u32_e32 vcc_lo, 0, v0
	v_or_b32_e32 v8, v19, v4
	v_cvt_f32_f16_e32 v4, v5
	v_lshrrev_b32_e32 v16, 8, v1
	v_and_or_b32 v14, 0x8000, v14, v15
	v_cndmask_b32_e64 v0, 0, 1, vcc_lo
	v_cmp_gt_i32_e32 vcc_lo, 1, v18
	v_cvt_f64_f32_e32 v[4:5], v4
	v_lshrrev_b32_e32 v1, 16, v1
	v_and_b32_e32 v14, 0xffff, v14
	v_and_or_b32 v0, 0xffe, v16, v0
	v_cndmask_b32_e32 v19, v9, v8, vcc_lo
	v_sub_nc_u32_e32 v8, 0x3f1, v17
	s_waitcnt lgkmcnt(0)
	v_lshrrev_b32_e32 v16, 16, v2
	v_add_nc_u32_e32 v17, 0xfffffc10, v17
	v_or_b32_e32 v22, 0x1000, v0
	v_and_b32_e32 v20, 7, v19
	v_med3_i32 v23, v8, 0, 13
	s_waitcnt vmcnt(0)
	v_mul_f16_sdwa v24, v16, v25 dst_sel:DWORD dst_unused:UNUSED_PAD src0_sel:DWORD src1_sel:WORD_1
	v_add_co_u32 v8, vcc_lo, v10, s19
	v_add_co_ci_u32_e32 v9, vcc_lo, s24, v11, vcc_lo
	v_lshrrev_b32_e32 v15, v23, v22
	v_fmac_f16_e32 v24, v2, v25
	v_cmp_lt_i32_e32 vcc_lo, 5, v20
	v_cmp_eq_u32_e64 s0, 3, v20
	v_lshrrev_b32_e32 v10, 2, v19
	v_lshlrev_b32_e32 v19, v23, v15
	v_cvt_f32_f16_e32 v11, v24
	v_mul_f64 v[4:5], v[4:5], s[22:23]
	s_or_b32 vcc_lo, s0, vcc_lo
	v_mul_f16_sdwa v2, v2, v25 dst_sel:DWORD dst_unused:UNUSED_PAD src0_sel:DWORD src1_sel:WORD_1
	v_add_co_ci_u32_e32 v20, vcc_lo, 0, v10, vcc_lo
	v_cmp_ne_u32_e32 vcc_lo, v19, v22
	v_cvt_f64_f32_e32 v[10:11], v11
	v_fma_f16 v2, v25, v16, -v2
	v_cndmask_b32_e64 v19, 0, 1, vcc_lo
	v_cmp_ne_u32_e32 vcc_lo, 0, v12
	v_cvt_f32_f16_e32 v2, v2
	v_or_b32_e32 v15, v15, v19
	v_cndmask_b32_e64 v12, 0, 1, vcc_lo
	v_cmp_gt_i32_e32 vcc_lo, 31, v18
	v_lshl_or_b32 v19, v17, 12, v0
	v_lshl_or_b32 v12, v12, 9, 0x7c00
	v_cndmask_b32_e32 v16, 0x7c00, v20, vcc_lo
	v_cmp_gt_i32_e32 vcc_lo, 1, v17
	v_and_or_b32 v4, 0x1ff, v5, v4
	v_bfe_u32 v20, v5, 20, 11
	v_cndmask_b32_e32 v15, v19, v15, vcc_lo
	v_cmp_eq_u32_e32 vcc_lo, 0x40f, v18
	v_mul_f64 v[10:11], v[10:11], s[22:23]
	v_lshrrev_b32_e32 v18, 16, v13
	v_lshrrev_b32_e32 v19, 8, v5
	;; [unrolled: 1-line block ×3, first 2 shown]
	v_cndmask_b32_e32 v16, v16, v12, vcc_lo
	v_cvt_f64_f32_e32 v[12:13], v2
	v_cmp_ne_u32_e32 vcc_lo, 0, v4
	v_and_b32_e32 v2, 7, v15
	v_and_or_b32 v16, 0x8000, v18, v16
	v_sub_nc_u32_e32 v18, 0x3f1, v20
	v_cndmask_b32_e64 v4, 0, 1, vcc_lo
	v_cmp_lt_i32_e32 vcc_lo, 5, v2
	v_cmp_eq_u32_e64 s0, 3, v2
	v_lshl_or_b32 v2, v16, 16, v14
	v_lshrrev_b32_e32 v14, 2, v15
	v_and_or_b32 v4, 0xffe, v19, v4
	v_med3_i32 v16, v18, 0, 13
	s_or_b32 vcc_lo, s0, vcc_lo
	v_add_co_ci_u32_e32 v14, vcc_lo, 0, v14, vcc_lo
	v_or_b32_e32 v15, 0x1000, v4
	v_cmp_ne_u32_e32 vcc_lo, 0, v0
	v_and_or_b32 v10, 0x1ff, v11, v10
	v_lshrrev_b32_e32 v19, 8, v11
	v_bfe_u32 v22, v11, 20, 11
	v_lshrrev_b32_e32 v18, v16, v15
	v_cndmask_b32_e64 v0, 0, 1, vcc_lo
	v_cmp_gt_i32_e32 vcc_lo, 31, v17
	v_mul_f64 v[12:13], v[12:13], s[22:23]
	v_lshrrev_b32_e32 v11, 16, v11
	v_lshlrev_b32_e32 v16, v16, v18
	v_lshl_or_b32 v0, v0, 9, 0x7c00
	v_cndmask_b32_e32 v14, 0x7c00, v14, vcc_lo
	v_cmp_ne_u32_e32 vcc_lo, 0, v10
	v_cndmask_b32_e64 v10, 0, 1, vcc_lo
	v_cmp_ne_u32_e32 vcc_lo, v16, v15
	v_add_nc_u32_e32 v16, 0xfffffc10, v20
	v_and_or_b32 v10, 0xffe, v19, v10
	v_cndmask_b32_e64 v15, 0, 1, vcc_lo
	v_sub_nc_u32_e32 v19, 0x3f1, v22
	v_cmp_eq_u32_e32 vcc_lo, 0x40f, v17
	v_or_b32_e32 v17, 0x1000, v10
	v_and_or_b32 v12, 0x1ff, v13, v12
	v_cndmask_b32_e32 v0, v14, v0, vcc_lo
	v_or_b32_e32 v14, v18, v15
	v_lshl_or_b32 v15, v16, 12, v4
	v_med3_i32 v18, v19, 0, 13
	v_cmp_gt_i32_e32 vcc_lo, 1, v16
	v_lshrrev_b32_e32 v19, 8, v13
	v_bfe_u32 v20, v13, 20, 11
	v_and_or_b32 v0, 0x8000, v1, v0
	v_cndmask_b32_e32 v14, v15, v14, vcc_lo
	v_lshrrev_b32_e32 v15, v18, v17
	v_cmp_ne_u32_e32 vcc_lo, 0, v12
	v_and_b32_e32 v23, 7, v14
	v_lshlrev_b32_e32 v18, v18, v15
	v_cndmask_b32_e64 v12, 0, 1, vcc_lo
	v_lshrrev_b32_e32 v14, 2, v14
	v_cmp_lt_i32_e32 vcc_lo, 5, v23
	v_cmp_ne_u32_e64 s0, v18, v17
	v_and_or_b32 v1, 0xffe, v19, v12
	v_sub_nc_u32_e32 v12, 0x3f1, v20
	v_add_nc_u32_e32 v19, 0xfffffc10, v22
	v_cndmask_b32_e64 v17, 0, 1, s0
	v_cmp_eq_u32_e64 s0, 3, v23
	v_or_b32_e32 v18, 0x1000, v1
	v_med3_i32 v12, v12, 0, 13
	v_lshl_or_b32 v22, v19, 12, v10
	v_or_b32_e32 v15, v15, v17
	s_or_b32 vcc_lo, s0, vcc_lo
	v_add_co_ci_u32_e32 v14, vcc_lo, 0, v14, vcc_lo
	v_lshrrev_b32_e32 v17, v12, v18
	v_cmp_gt_i32_e32 vcc_lo, 1, v19
	v_lshlrev_b32_e32 v12, v12, v17
	v_cndmask_b32_e32 v15, v22, v15, vcc_lo
	v_cmp_ne_u32_e32 vcc_lo, 0, v4
	v_cndmask_b32_e64 v4, 0, 1, vcc_lo
	v_cmp_ne_u32_e32 vcc_lo, v12, v18
	v_add_nc_u32_e32 v18, 0xfffffc10, v20
	v_and_b32_e32 v20, 7, v15
	v_lshl_or_b32 v4, v4, 9, 0x7c00
	v_cndmask_b32_e64 v12, 0, 1, vcc_lo
	v_cmp_gt_i32_e32 vcc_lo, 31, v16
	v_cmp_gt_i32_e64 s1, 1, v18
	v_cmp_eq_u32_e64 s0, 3, v20
	v_or_b32_e32 v12, v17, v12
	v_lshl_or_b32 v17, v18, 12, v1
	v_cndmask_b32_e32 v14, 0x7c00, v14, vcc_lo
	v_cmp_lt_i32_e32 vcc_lo, 5, v20
	v_cndmask_b32_e64 v12, v17, v12, s1
	v_cmp_eq_u32_e64 s1, 0x40f, v16
	s_or_b32 vcc_lo, s0, vcc_lo
	v_cndmask_b32_e64 v4, v14, v4, s1
	v_lshrrev_b32_e32 v14, 2, v15
	v_and_b32_e32 v15, 7, v12
	v_lshrrev_b32_e32 v12, 2, v12
	v_cmp_gt_i32_e64 s1, 31, v19
	v_and_or_b32 v4, 0x8000, v5, v4
	v_add_co_ci_u32_e32 v14, vcc_lo, 0, v14, vcc_lo
	v_cmp_ne_u32_e32 vcc_lo, 0, v10
	v_cmp_eq_u32_e64 s0, 3, v15
	v_and_b32_e32 v5, 0xffff, v0
	v_cndmask_b32_e64 v14, 0x7c00, v14, s1
	v_cndmask_b32_e64 v10, 0, 1, vcc_lo
	v_cmp_lt_i32_e32 vcc_lo, 5, v15
	v_lshl_or_b32 v10, v10, 9, 0x7c00
	s_or_b32 vcc_lo, s0, vcc_lo
	v_add_co_ci_u32_e32 v12, vcc_lo, 0, v12, vcc_lo
	v_cmp_ne_u32_e32 vcc_lo, 0, v1
	v_cndmask_b32_e64 v1, 0, 1, vcc_lo
	v_cmp_eq_u32_e32 vcc_lo, 0x40f, v19
	v_lshl_or_b32 v1, v1, 9, 0x7c00
	v_cndmask_b32_e32 v10, v14, v10, vcc_lo
	v_cmp_gt_i32_e32 vcc_lo, 31, v18
	v_and_or_b32 v10, 0x8000, v11, v10
	v_cndmask_b32_e32 v12, 0x7c00, v12, vcc_lo
	v_cmp_eq_u32_e32 vcc_lo, 0x40f, v18
	v_and_b32_e32 v10, 0xffff, v10
	v_cndmask_b32_e32 v11, v12, v1, vcc_lo
	v_lshrrev_b32_e32 v12, 16, v13
	v_add_co_u32 v0, vcc_lo, v8, s19
	v_add_co_ci_u32_e32 v1, vcc_lo, s24, v9, vcc_lo
	v_lshl_or_b32 v13, v4, 16, v5
	v_and_or_b32 v11, 0x8000, v12, v11
	v_add_co_u32 v4, vcc_lo, v0, s19
	v_add_co_ci_u32_e32 v5, vcc_lo, s24, v1, vcc_lo
	v_lshl_or_b32 v12, v11, 16, v10
	v_add_co_u32 v10, vcc_lo, v4, s19
	v_add_co_ci_u32_e32 v11, vcc_lo, s24, v5, vcc_lo
	v_add_co_u32 v6, vcc_lo, 0x800, v6
	v_add_co_ci_u32_e32 v7, vcc_lo, 0, v7, vcc_lo
	global_store_dword v[8:9], v21, off
	global_store_dword v[0:1], v2, off
	;; [unrolled: 1-line block ×4, first 2 shown]
	v_lshrrev_b32_e32 v1, 16, v3
	global_load_dword v0, v[6:7], off offset:112
	s_waitcnt vmcnt(0)
	v_mul_f16_sdwa v2, v1, v0 dst_sel:DWORD dst_unused:UNUSED_PAD src0_sel:DWORD src1_sel:WORD_1
	v_mul_f16_sdwa v4, v3, v0 dst_sel:DWORD dst_unused:UNUSED_PAD src0_sel:DWORD src1_sel:WORD_1
	v_fmac_f16_e32 v2, v3, v0
	v_fma_f16 v0, v0, v1, -v4
	v_cvt_f32_f16_e32 v1, v2
	v_cvt_f32_f16_e32 v2, v0
	v_cvt_f64_f32_e32 v[0:1], v1
	v_cvt_f64_f32_e32 v[2:3], v2
	v_mul_f64 v[0:1], v[0:1], s[22:23]
	v_mul_f64 v[2:3], v[2:3], s[22:23]
	v_and_or_b32 v0, 0x1ff, v1, v0
	v_and_or_b32 v2, 0x1ff, v3, v2
	v_lshrrev_b32_e32 v4, 8, v1
	v_bfe_u32 v5, v1, 20, 11
	v_lshrrev_b32_e32 v6, 8, v3
	v_cmp_ne_u32_e32 vcc_lo, 0, v0
	v_bfe_u32 v7, v3, 20, 11
	v_lshrrev_b32_e32 v1, 16, v1
	v_lshrrev_b32_e32 v3, 16, v3
	v_cndmask_b32_e64 v0, 0, 1, vcc_lo
	v_cmp_ne_u32_e32 vcc_lo, 0, v2
	v_and_or_b32 v0, 0xffe, v4, v0
	v_cndmask_b32_e64 v2, 0, 1, vcc_lo
	v_sub_nc_u32_e32 v4, 0x3f1, v5
	v_add_nc_u32_e32 v5, 0xfffffc10, v5
	v_or_b32_e32 v8, 0x1000, v0
	v_and_or_b32 v2, 0xffe, v6, v2
	v_sub_nc_u32_e32 v6, 0x3f1, v7
	v_med3_i32 v4, v4, 0, 13
	v_add_nc_u32_e32 v7, 0xfffffc10, v7
	v_or_b32_e32 v9, 0x1000, v2
	v_med3_i32 v6, v6, 0, 13
	v_lshrrev_b32_e32 v12, v4, v8
	v_lshrrev_b32_e32 v13, v6, v9
	v_lshlrev_b32_e32 v4, v4, v12
	v_lshlrev_b32_e32 v6, v6, v13
	v_cmp_ne_u32_e32 vcc_lo, v4, v8
	v_lshl_or_b32 v8, v5, 12, v0
	v_cndmask_b32_e64 v4, 0, 1, vcc_lo
	v_cmp_ne_u32_e32 vcc_lo, v6, v9
	v_lshl_or_b32 v9, v7, 12, v2
	v_or_b32_e32 v4, v12, v4
	v_cndmask_b32_e64 v6, 0, 1, vcc_lo
	v_cmp_gt_i32_e32 vcc_lo, 1, v5
	v_or_b32_e32 v6, v13, v6
	v_cndmask_b32_e32 v4, v8, v4, vcc_lo
	v_cmp_gt_i32_e32 vcc_lo, 1, v7
	v_and_b32_e32 v8, 7, v4
	v_cndmask_b32_e32 v6, v9, v6, vcc_lo
	v_lshrrev_b32_e32 v4, 2, v4
	v_cmp_lt_i32_e32 vcc_lo, 5, v8
	v_cmp_eq_u32_e64 s0, 3, v8
	v_and_b32_e32 v9, 7, v6
	v_lshrrev_b32_e32 v6, 2, v6
	s_or_b32 vcc_lo, s0, vcc_lo
	v_cmp_lt_i32_e64 s1, 5, v9
	v_add_co_ci_u32_e32 v4, vcc_lo, 0, v4, vcc_lo
	v_cmp_eq_u32_e64 s2, 3, v9
	v_cmp_ne_u32_e32 vcc_lo, 0, v0
	v_cndmask_b32_e64 v0, 0, 1, vcc_lo
	s_or_b32 vcc_lo, s2, s1
	v_add_co_ci_u32_e32 v6, vcc_lo, 0, v6, vcc_lo
	v_cmp_ne_u32_e32 vcc_lo, 0, v2
	v_lshl_or_b32 v0, v0, 9, 0x7c00
	v_cndmask_b32_e64 v2, 0, 1, vcc_lo
	v_cmp_gt_i32_e32 vcc_lo, 31, v5
	v_lshl_or_b32 v2, v2, 9, 0x7c00
	v_cndmask_b32_e32 v4, 0x7c00, v4, vcc_lo
	v_cmp_gt_i32_e32 vcc_lo, 31, v7
	v_cndmask_b32_e32 v6, 0x7c00, v6, vcc_lo
	v_cmp_eq_u32_e32 vcc_lo, 0x40f, v5
	v_cndmask_b32_e32 v0, v4, v0, vcc_lo
	v_cmp_eq_u32_e32 vcc_lo, 0x40f, v7
	v_and_or_b32 v0, 0x8000, v1, v0
	v_cndmask_b32_e32 v2, v6, v2, vcc_lo
	v_and_b32_e32 v0, 0xffff, v0
	v_and_or_b32 v1, 0x8000, v3, v2
	v_lshl_or_b32 v2, v1, 16, v0
	v_add_co_u32 v0, vcc_lo, v10, s19
	v_add_co_ci_u32_e32 v1, vcc_lo, s24, v11, vcc_lo
	global_store_dword v[0:1], v2, off
.LBB0_23:
	s_endpgm
	.section	.rodata,"a",@progbits
	.p2align	6, 0x0
	.amdhsa_kernel bluestein_single_back_len585_dim1_half_op_CI_CI
		.amdhsa_group_segment_fixed_size 7020
		.amdhsa_private_segment_fixed_size 0
		.amdhsa_kernarg_size 104
		.amdhsa_user_sgpr_count 6
		.amdhsa_user_sgpr_private_segment_buffer 1
		.amdhsa_user_sgpr_dispatch_ptr 0
		.amdhsa_user_sgpr_queue_ptr 0
		.amdhsa_user_sgpr_kernarg_segment_ptr 1
		.amdhsa_user_sgpr_dispatch_id 0
		.amdhsa_user_sgpr_flat_scratch_init 0
		.amdhsa_user_sgpr_private_segment_size 0
		.amdhsa_wavefront_size32 1
		.amdhsa_uses_dynamic_stack 0
		.amdhsa_system_sgpr_private_segment_wavefront_offset 0
		.amdhsa_system_sgpr_workgroup_id_x 1
		.amdhsa_system_sgpr_workgroup_id_y 0
		.amdhsa_system_sgpr_workgroup_id_z 0
		.amdhsa_system_sgpr_workgroup_info 0
		.amdhsa_system_vgpr_workitem_id 0
		.amdhsa_next_free_vgpr 119
		.amdhsa_next_free_sgpr 25
		.amdhsa_reserve_vcc 1
		.amdhsa_reserve_flat_scratch 0
		.amdhsa_float_round_mode_32 0
		.amdhsa_float_round_mode_16_64 0
		.amdhsa_float_denorm_mode_32 3
		.amdhsa_float_denorm_mode_16_64 3
		.amdhsa_dx10_clamp 1
		.amdhsa_ieee_mode 1
		.amdhsa_fp16_overflow 0
		.amdhsa_workgroup_processor_mode 1
		.amdhsa_memory_ordered 1
		.amdhsa_forward_progress 0
		.amdhsa_shared_vgpr_count 0
		.amdhsa_exception_fp_ieee_invalid_op 0
		.amdhsa_exception_fp_denorm_src 0
		.amdhsa_exception_fp_ieee_div_zero 0
		.amdhsa_exception_fp_ieee_overflow 0
		.amdhsa_exception_fp_ieee_underflow 0
		.amdhsa_exception_fp_ieee_inexact 0
		.amdhsa_exception_int_div_zero 0
	.end_amdhsa_kernel
	.text
.Lfunc_end0:
	.size	bluestein_single_back_len585_dim1_half_op_CI_CI, .Lfunc_end0-bluestein_single_back_len585_dim1_half_op_CI_CI
                                        ; -- End function
	.section	.AMDGPU.csdata,"",@progbits
; Kernel info:
; codeLenInByte = 21036
; NumSgprs: 27
; NumVgprs: 119
; ScratchSize: 0
; MemoryBound: 0
; FloatMode: 240
; IeeeMode: 1
; LDSByteSize: 7020 bytes/workgroup (compile time only)
; SGPRBlocks: 3
; VGPRBlocks: 14
; NumSGPRsForWavesPerEU: 27
; NumVGPRsForWavesPerEU: 119
; Occupancy: 8
; WaveLimiterHint : 1
; COMPUTE_PGM_RSRC2:SCRATCH_EN: 0
; COMPUTE_PGM_RSRC2:USER_SGPR: 6
; COMPUTE_PGM_RSRC2:TRAP_HANDLER: 0
; COMPUTE_PGM_RSRC2:TGID_X_EN: 1
; COMPUTE_PGM_RSRC2:TGID_Y_EN: 0
; COMPUTE_PGM_RSRC2:TGID_Z_EN: 0
; COMPUTE_PGM_RSRC2:TIDIG_COMP_CNT: 0
	.text
	.p2alignl 6, 3214868480
	.fill 48, 4, 3214868480
	.type	__hip_cuid_54af92b6352f46f7,@object ; @__hip_cuid_54af92b6352f46f7
	.section	.bss,"aw",@nobits
	.globl	__hip_cuid_54af92b6352f46f7
__hip_cuid_54af92b6352f46f7:
	.byte	0                               ; 0x0
	.size	__hip_cuid_54af92b6352f46f7, 1

	.ident	"AMD clang version 19.0.0git (https://github.com/RadeonOpenCompute/llvm-project roc-6.4.0 25133 c7fe45cf4b819c5991fe208aaa96edf142730f1d)"
	.section	".note.GNU-stack","",@progbits
	.addrsig
	.addrsig_sym __hip_cuid_54af92b6352f46f7
	.amdgpu_metadata
---
amdhsa.kernels:
  - .args:
      - .actual_access:  read_only
        .address_space:  global
        .offset:         0
        .size:           8
        .value_kind:     global_buffer
      - .actual_access:  read_only
        .address_space:  global
        .offset:         8
        .size:           8
        .value_kind:     global_buffer
      - .actual_access:  read_only
        .address_space:  global
        .offset:         16
        .size:           8
        .value_kind:     global_buffer
      - .actual_access:  read_only
        .address_space:  global
        .offset:         24
        .size:           8
        .value_kind:     global_buffer
      - .actual_access:  read_only
        .address_space:  global
        .offset:         32
        .size:           8
        .value_kind:     global_buffer
      - .offset:         40
        .size:           8
        .value_kind:     by_value
      - .address_space:  global
        .offset:         48
        .size:           8
        .value_kind:     global_buffer
      - .address_space:  global
        .offset:         56
        .size:           8
        .value_kind:     global_buffer
      - .address_space:  global
        .offset:         64
        .size:           8
        .value_kind:     global_buffer
      - .address_space:  global
        .offset:         72
        .size:           8
        .value_kind:     global_buffer
      - .offset:         80
        .size:           4
        .value_kind:     by_value
      - .address_space:  global
        .offset:         88
        .size:           8
        .value_kind:     global_buffer
      - .address_space:  global
        .offset:         96
        .size:           8
        .value_kind:     global_buffer
    .group_segment_fixed_size: 7020
    .kernarg_segment_align: 8
    .kernarg_segment_size: 104
    .language:       OpenCL C
    .language_version:
      - 2
      - 0
    .max_flat_workgroup_size: 195
    .name:           bluestein_single_back_len585_dim1_half_op_CI_CI
    .private_segment_fixed_size: 0
    .sgpr_count:     27
    .sgpr_spill_count: 0
    .symbol:         bluestein_single_back_len585_dim1_half_op_CI_CI.kd
    .uniform_work_group_size: 1
    .uses_dynamic_stack: false
    .vgpr_count:     119
    .vgpr_spill_count: 0
    .wavefront_size: 32
    .workgroup_processor_mode: 1
amdhsa.target:   amdgcn-amd-amdhsa--gfx1030
amdhsa.version:
  - 1
  - 2
...

	.end_amdgpu_metadata
